;; amdgpu-corpus repo=ROCm/rocFFT kind=compiled arch=gfx950 opt=O3
	.text
	.amdgcn_target "amdgcn-amd-amdhsa--gfx950"
	.amdhsa_code_object_version 6
	.protected	bluestein_single_fwd_len1020_dim1_dp_op_CI_CI ; -- Begin function bluestein_single_fwd_len1020_dim1_dp_op_CI_CI
	.globl	bluestein_single_fwd_len1020_dim1_dp_op_CI_CI
	.p2align	8
	.type	bluestein_single_fwd_len1020_dim1_dp_op_CI_CI,@function
bluestein_single_fwd_len1020_dim1_dp_op_CI_CI: ; @bluestein_single_fwd_len1020_dim1_dp_op_CI_CI
; %bb.0:
	s_load_dwordx4 s[12:15], s[0:1], 0x28
	v_mul_u32_u24_e32 v1, 0x3c4, v0
	v_lshrrev_b32_e32 v2, 16, v1
	v_mad_u64_u32 v[10:11], s[2:3], s2, 3, v[2:3]
	v_mov_b32_e32 v197, 0
	v_mov_b32_e32 v11, v197
	s_waitcnt lgkmcnt(0)
	v_cmp_gt_u64_e32 vcc, s[12:13], v[10:11]
	s_and_saveexec_b64 s[2:3], vcc
	s_cbranch_execz .LBB0_31
; %bb.1:
	s_load_dwordx4 s[4:7], s[0:1], 0x18
	s_load_dwordx2 s[16:17], s[0:1], 0x0
	v_mul_lo_u16_e32 v1, 0x44, v2
	v_sub_u16_e32 v196, v0, v1
	v_lshlrev_b32_e32 v20, 4, v196
	s_waitcnt lgkmcnt(0)
	s_load_dwordx4 s[8:11], s[4:5], 0x0
	v_mov_b32_e32 v21, v197
	v_mov_b32_e32 v4, s14
	;; [unrolled: 1-line block ×3, first 2 shown]
	v_lshl_add_u64 v[48:49], s[16:17], 0, v[20:21]
	s_waitcnt lgkmcnt(0)
	v_mad_u64_u32 v[0:1], s[2:3], s10, v10, 0
	v_mov_b32_e32 v2, v1
	v_mad_u64_u32 v[2:3], s[2:3], s11, v10, v[2:3]
	v_mov_b32_e32 v1, v2
	;; [unrolled: 2-line block ×3, first 2 shown]
	v_mad_u64_u32 v[6:7], s[2:3], s9, v196, v[6:7]
	s_mul_i32 s2, s9, 0x1fe
	s_mul_hi_u32 s3, s8, 0x1fe
	s_movk_i32 s10, 0x1000
	v_mov_b32_e32 v3, v6
	v_lshl_add_u64 v[0:1], v[0:1], 4, v[4:5]
	s_add_i32 s3, s3, s2
	s_mul_i32 s2, s8, 0x1fe
	v_add_co_u32_e32 v22, vcc, s10, v48
	v_lshl_add_u64 v[8:9], v[2:3], 4, v[0:1]
	s_lshl_b64 s[4:5], s[2:3], 4
	v_addc_co_u32_e32 v23, vcc, 0, v49, vcc
	v_mov_b32_e32 v50, v10
	v_lshl_add_u64 v[10:11], v[8:9], 0, s[4:5]
	global_load_dwordx4 v[4:7], v[8:9], off
	global_load_dwordx4 v[0:3], v[10:11], off
	global_load_dwordx4 v[70:73], v[22:23], off offset:4064
	global_load_dwordx4 v[122:125], v20, s[16:17]
	s_mul_hi_u32 s10, s8, 0xfffffe46
	s_mulk_i32 s9, 0xfe46
	s_sub_i32 s10, s10, s8
	s_add_i32 s15, s10, s9
	s_mul_i32 s14, s8, 0xfffffe46
	s_lshl_b64 s[8:9], s[14:15], 4
	s_movk_i32 s10, 0x2000
	v_lshl_add_u64 v[16:17], v[10:11], 0, s[8:9]
	global_load_dwordx4 v[74:77], v20, s[16:17] offset:1088
	v_add_co_u32_e32 v24, vcc, s10, v48
	v_lshl_add_u64 v[18:19], v[16:17], 0, s[4:5]
	global_load_dwordx4 v[12:15], v[16:17], off
	global_load_dwordx4 v[8:11], v[18:19], off
	v_addc_co_u32_e32 v25, vcc, 0, v49, vcc
	global_load_dwordx4 v[78:81], v[24:25], off offset:1056
	v_lshl_add_u64 v[26:27], v[18:19], 0, s[8:9]
	global_load_dwordx4 v[16:19], v[26:27], off
	global_load_dwordx4 v[82:85], v20, s[16:17] offset:2176
	v_lshl_add_u64 v[30:31], v[26:27], 0, s[4:5]
	global_load_dwordx4 v[26:29], v[30:31], off
	global_load_dwordx4 v[86:89], v[24:25], off offset:2144
	v_lshl_add_u64 v[34:35], v[30:31], 0, s[8:9]
	global_load_dwordx4 v[30:33], v[34:35], off
	global_load_dwordx4 v[90:93], v20, s[16:17] offset:3264
	v_lshl_add_u64 v[38:39], v[34:35], 0, s[4:5]
	global_load_dwordx4 v[34:37], v[38:39], off
	global_load_dwordx4 v[94:97], v[24:25], off offset:3232
	v_lshl_add_u64 v[24:25], v[38:39], 0, s[8:9]
	s_movk_i32 s10, 0x3000
	global_load_dwordx4 v[38:41], v[24:25], off
	global_load_dwordx4 v[98:101], v[22:23], off offset:256
	v_lshl_add_u64 v[46:47], v[24:25], 0, s[4:5]
	v_add_co_u32_e32 v24, vcc, s10, v48
	global_load_dwordx4 v[42:45], v[46:47], off
	s_nop 0
	v_addc_co_u32_e32 v25, vcc, 0, v49, vcc
	global_load_dwordx4 v[102:105], v[24:25], off offset:224
	v_accvgpr_write_b32 a0, v48
	v_lshl_add_u64 v[52:53], v[46:47], 0, s[8:9]
	v_accvgpr_write_b32 a1, v49
	global_load_dwordx4 v[46:49], v[52:53], off
	global_load_dwordx4 v[110:113], v[22:23], off offset:1344
	v_lshl_add_u64 v[52:53], v[52:53], 0, s[4:5]
	global_load_dwordx4 v[54:57], v[52:53], off
	global_load_dwordx4 v[106:109], v[24:25], off offset:1312
	v_lshl_add_u64 v[52:53], v[52:53], 0, s[8:9]
	;; [unrolled: 3-line block ×3, first 2 shown]
	global_load_dwordx4 v[62:65], v[22:23], off
	global_load_dwordx4 v[118:121], v[24:25], off offset:2400
	s_mov_b32 s4, 0xaaaaaaab
	v_mul_hi_u32 v21, v50, s4
	v_lshrrev_b32_e32 v21, 1, v21
	v_lshl_add_u32 v21, v21, 1, v21
	v_sub_u32_e32 v21, v50, v21
	v_mul_u32_u24_e32 v21, 0x3fc, v21
	v_lshlrev_b32_e32 v52, 4, v21
	v_add_u32_e32 v53, v20, v52
	s_load_dwordx2 s[12:13], s[0:1], 0x38
	s_load_dwordx4 s[8:11], s[6:7], 0x0
	v_accvgpr_write_b32 a56, v50
	v_cmp_gt_u16_e64 s[4:5], 34, v196
	s_waitcnt vmcnt(25)
	v_accvgpr_write_b32 a2, v70
	s_waitcnt vmcnt(24)
	v_mul_f64 v[66:67], v[6:7], v[124:125]
	v_fmac_f64_e32 v[66:67], v[4:5], v[122:123]
	v_mul_f64 v[4:5], v[4:5], v[124:125]
	v_fma_f64 v[68:69], v[6:7], v[122:123], -v[4:5]
	v_mul_f64 v[4:5], v[2:3], v[72:73]
	v_fmac_f64_e32 v[4:5], v[0:1], v[70:71]
	v_mul_f64 v[0:1], v[0:1], v[72:73]
	v_fma_f64 v[6:7], v[2:3], v[70:71], -v[0:1]
	v_accvgpr_write_b32 a58, v122
	s_waitcnt vmcnt(23)
	v_accvgpr_write_b32 a6, v74
	v_accvgpr_write_b32 a59, v123
	;; [unrolled: 1-line block ×3, first 2 shown]
	s_waitcnt vmcnt(22)
	v_mul_f64 v[0:1], v[14:15], v[76:77]
	v_mul_f64 v[2:3], v[12:13], v[76:77]
	v_fmac_f64_e32 v[0:1], v[12:13], v[74:75]
	v_fma_f64 v[2:3], v[14:15], v[74:75], -v[2:3]
	ds_write_b128 v53, v[0:3] offset:1088
	s_waitcnt vmcnt(20)
	v_mul_f64 v[0:1], v[10:11], v[80:81]
	v_mul_f64 v[2:3], v[8:9], v[80:81]
	v_fmac_f64_e32 v[0:1], v[8:9], v[78:79]
	v_fma_f64 v[2:3], v[10:11], v[78:79], -v[2:3]
	ds_write_b128 v53, v[0:3] offset:9248
	;; [unrolled: 6-line block ×10, first 2 shown]
	s_waitcnt vmcnt(2)
	v_mul_f64 v[0:1], v[60:61], v[116:117]
	v_mul_f64 v[2:3], v[58:59], v[116:117]
	v_fmac_f64_e32 v[0:1], v[58:59], v[114:115]
	v_fma_f64 v[2:3], v[60:61], v[114:115], -v[2:3]
	v_accvgpr_write_b32 a10, v78
	v_accvgpr_write_b32 a14, v82
	;; [unrolled: 1-line block ×10, first 2 shown]
	ds_write_b128 v53, v[0:3] offset:6528
	s_waitcnt vmcnt(0)
	v_mul_f64 v[0:1], v[64:65], v[120:121]
	v_mul_f64 v[2:3], v[62:63], v[120:121]
	v_accvgpr_write_b32 a52, v118
	v_accvgpr_write_b32 a61, v125
	;; [unrolled: 1-line block ×38, first 2 shown]
	v_fmac_f64_e32 v[0:1], v[62:63], v[118:119]
	v_accvgpr_write_b32 a53, v119
	v_accvgpr_write_b32 a54, v120
	;; [unrolled: 1-line block ×3, first 2 shown]
	v_fma_f64 v[2:3], v[64:65], v[118:119], -v[2:3]
	ds_write_b128 v53, v[66:69]
	ds_write_b128 v53, v[4:7] offset:8160
	ds_write_b128 v53, v[0:3] offset:14688
	s_and_saveexec_b64 s[6:7], s[4:5]
	s_cbranch_execz .LBB0_3
; %bb.2:
	v_accvgpr_read_b32 v5, a1
	v_accvgpr_read_b32 v4, a0
	v_add_co_u32_e32 v4, vcc, 0x1000, v4
	v_lshl_add_u64 v[8:9], s[14:15], 4, v[22:23]
	s_nop 0
	v_addc_co_u32_e32 v5, vcc, 0, v5, vcc
	global_load_dwordx4 v[0:3], v[8:9], off
	v_lshl_add_u64 v[16:17], s[2:3], 4, v[8:9]
	global_load_dwordx4 v[4:7], v[4:5], off offset:3520
	s_nop 0
	global_load_dwordx4 v[8:11], v[24:25], off offset:3488
	global_load_dwordx4 v[12:15], v[16:17], off
	s_waitcnt vmcnt(2)
	v_mul_f64 v[16:17], v[2:3], v[6:7]
	v_mul_f64 v[18:19], v[0:1], v[6:7]
	s_waitcnt vmcnt(0)
	v_mul_f64 v[6:7], v[14:15], v[10:11]
	v_mul_f64 v[10:11], v[12:13], v[10:11]
	v_fmac_f64_e32 v[16:17], v[0:1], v[4:5]
	v_fma_f64 v[18:19], v[2:3], v[4:5], -v[18:19]
	v_fmac_f64_e32 v[6:7], v[12:13], v[8:9]
	v_fma_f64 v[8:9], v[14:15], v[8:9], -v[10:11]
	ds_write_b128 v53, v[16:19] offset:7616
	ds_write_b128 v53, v[6:9] offset:15776
.LBB0_3:
	s_or_b64 exec, exec, s[6:7]
	s_waitcnt lgkmcnt(0)
	s_barrier
	ds_read_b128 v[64:67], v53
	ds_read_b128 v[56:59], v53 offset:1088
	ds_read_b128 v[60:63], v53 offset:9248
	ds_read_b128 v[44:47], v53 offset:10336
	ds_read_b128 v[40:43], v53 offset:2176
	ds_read_b128 v[32:35], v53 offset:3264
	ds_read_b128 v[36:39], v53 offset:11424
	ds_read_b128 v[28:31], v53 offset:12512
	ds_read_b128 v[24:27], v53 offset:4352
	ds_read_b128 v[12:15], v53 offset:5440
	ds_read_b128 v[68:71], v53 offset:8160
	ds_read_b128 v[4:7], v53 offset:6528
	ds_read_b128 v[20:23], v53 offset:13600
	ds_read_b128 v[8:11], v53 offset:14688
                                        ; implicit-def: $vgpr0_vgpr1
                                        ; implicit-def: $vgpr16_vgpr17
	s_and_saveexec_b64 s[2:3], s[4:5]
	s_cbranch_execz .LBB0_5
; %bb.4:
	ds_read_b128 v[0:3], v53 offset:7616
	ds_read_b128 v[16:19], v53 offset:15776
.LBB0_5:
	s_or_b64 exec, exec, s[2:3]
	s_mov_b64 s[2:3], 0x44
	s_waitcnt lgkmcnt(3)
	v_add_f64 v[124:125], v[64:65], -v[68:69]
	v_add_f64 v[126:127], v[66:67], -v[70:71]
	s_waitcnt lgkmcnt(0)
	v_add_f64 v[180:181], v[0:1], -v[16:17]
	v_lshl_add_u64 v[246:247], v[196:197], 0, s[2:3]
	s_mov_b64 s[2:3], 0x88
	v_fma_f64 v[120:121], v[64:65], 2.0, -v[124:125]
	v_fma_f64 v[122:123], v[66:67], 2.0, -v[126:127]
	v_add_f64 v[132:133], v[56:57], -v[60:61]
	v_add_f64 v[134:135], v[58:59], -v[62:63]
	v_fma_f64 v[176:177], v[0:1], 2.0, -v[180:181]
	v_lshl_add_u32 v0, v196, 5, v52
	v_lshl_add_u64 v[54:55], v[196:197], 0, s[2:3]
	s_mov_b64 s[2:3], 0xcc
	v_fma_f64 v[128:129], v[56:57], 2.0, -v[132:133]
	v_fma_f64 v[130:131], v[58:59], 2.0, -v[134:135]
	v_add_f64 v[140:141], v[40:41], -v[44:45]
	v_add_f64 v[142:143], v[42:43], -v[46:47]
	s_barrier
	ds_write_b128 v0, v[120:123]
	v_accvgpr_write_b32 a62, v0
	ds_write_b128 v0, v[124:127] offset:16
	v_lshl_add_u32 v0, v246, 5, v52
	v_lshl_add_u64 v[194:195], v[196:197], 0, s[2:3]
	s_mov_b64 s[2:3], 0x110
	v_fma_f64 v[136:137], v[40:41], 2.0, -v[140:141]
	v_fma_f64 v[138:139], v[42:43], 2.0, -v[142:143]
	v_add_f64 v[148:149], v[32:33], -v[36:37]
	v_add_f64 v[150:151], v[34:35], -v[38:39]
	ds_write_b128 v0, v[128:131]
	v_accvgpr_write_b32 a63, v0
	ds_write_b128 v0, v[132:135] offset:16
	v_lshl_add_u32 v0, v54, 5, v52
	s_load_dwordx2 s[0:1], s[0:1], 0x8
	v_lshl_add_u64 v[192:193], v[196:197], 0, s[2:3]
	s_mov_b64 s[2:3], 0x154
	v_fma_f64 v[144:145], v[32:33], 2.0, -v[148:149]
	v_fma_f64 v[146:147], v[34:35], 2.0, -v[150:151]
	v_add_f64 v[156:157], v[24:25], -v[28:29]
	v_add_f64 v[158:159], v[26:27], -v[30:31]
	ds_write_b128 v0, v[136:139]
	v_accvgpr_write_b32 a64, v0
	ds_write_b128 v0, v[140:143] offset:16
	v_lshl_add_u32 v0, v194, 5, v52
	v_lshl_add_u64 v[200:201], v[196:197], 0, s[2:3]
	s_mov_b64 s[2:3], 0x198
	v_fma_f64 v[152:153], v[24:25], 2.0, -v[156:157]
	v_fma_f64 v[154:155], v[26:27], 2.0, -v[158:159]
	v_add_f64 v[164:165], v[12:13], -v[20:21]
	v_add_f64 v[166:167], v[14:15], -v[22:23]
	ds_write_b128 v0, v[144:147]
	v_accvgpr_write_b32 a65, v0
	ds_write_b128 v0, v[148:151] offset:16
	v_lshl_add_u32 v0, v192, 5, v52
	v_lshl_add_u64 v[198:199], v[196:197], 0, s[2:3]
	s_mov_b64 s[2:3], 0x1dc
	v_fma_f64 v[160:161], v[12:13], 2.0, -v[164:165]
	v_fma_f64 v[162:163], v[14:15], 2.0, -v[166:167]
	ds_write_b128 v0, v[152:155]
	v_accvgpr_write_b32 a66, v0
	ds_write_b128 v0, v[156:159] offset:16
	v_lshl_add_u32 v0, v200, 5, v52
	v_lshl_add_u64 v[74:75], v[196:197], 0, s[2:3]
	v_add_f64 v[172:173], v[4:5], -v[8:9]
	v_add_f64 v[174:175], v[6:7], -v[10:11]
	;; [unrolled: 1-line block ×3, first 2 shown]
	ds_write_b128 v0, v[160:163]
	v_accvgpr_write_b32 a67, v0
	ds_write_b128 v0, v[164:167] offset:16
	v_lshl_add_u32 v0, v198, 5, v52
	v_fma_f64 v[168:169], v[4:5], 2.0, -v[172:173]
	v_fma_f64 v[170:171], v[6:7], 2.0, -v[174:175]
	;; [unrolled: 1-line block ×3, first 2 shown]
	v_accvgpr_write_b32 a68, v0
	v_lshl_add_u32 v75, v74, 5, v52
	ds_write_b128 v0, v[168:171]
	ds_write_b128 v0, v[172:175] offset:16
	s_and_saveexec_b64 s[2:3], s[4:5]
	s_cbranch_execz .LBB0_7
; %bb.6:
	ds_write_b128 v75, v[176:179]
	ds_write_b128 v75, v[180:183] offset:16
.LBB0_7:
	s_or_b64 exec, exec, s[2:3]
	v_cmp_gt_u16_e64 s[2:3], 60, v196
	s_waitcnt lgkmcnt(0)
	s_barrier
	s_waitcnt lgkmcnt(0)
                                        ; implicit-def: $vgpr0_vgpr1
	s_and_saveexec_b64 s[6:7], s[2:3]
	s_cbranch_execz .LBB0_9
; %bb.8:
	ds_read_b128 v[120:123], v53
	ds_read_b128 v[124:127], v53 offset:960
	ds_read_b128 v[128:131], v53 offset:1920
	;; [unrolled: 1-line block ×16, first 2 shown]
.LBB0_9:
	s_or_b64 exec, exec, s[6:7]
	v_and_b32_e32 v4, 1, v196
	v_accvgpr_write_b32 a57, v4
	v_lshlrev_b32_e32 v4, 8, v4
	global_load_dwordx4 v[206:209], v4, s[0:1]
	global_load_dwordx4 v[202:205], v4, s[0:1] offset:16
	global_load_dwordx4 v[70:73], v4, s[0:1] offset:32
	;; [unrolled: 1-line block ×15, first 2 shown]
	s_mov_b32 s36, 0x5d8e7cdc
	s_mov_b32 s6, 0x370991
	;; [unrolled: 1-line block ×44, first 2 shown]
	s_waitcnt lgkmcnt(0)
	s_barrier
	s_waitcnt vmcnt(15)
	v_mul_f64 v[4:5], v[126:127], v[208:209]
	v_mul_f64 v[12:13], v[124:125], v[208:209]
	s_waitcnt vmcnt(14)
	v_mul_f64 v[6:7], v[130:131], v[204:205]
	v_mul_f64 v[14:15], v[128:129], v[204:205]
	v_fma_f64 v[50:51], v[124:125], v[206:207], -v[4:5]
	s_waitcnt vmcnt(10)
	v_mul_f64 v[22:23], v[144:145], v[82:83]
	v_fmac_f64_e32 v[12:13], v[126:127], v[206:207]
	v_fma_f64 v[4:5], v[128:129], v[202:203], -v[6:7]
	v_accvgpr_write_b32 a77, v73
	v_mul_f64 v[8:9], v[134:135], v[72:73]
	v_mul_f64 v[16:17], v[132:133], v[72:73]
	;; [unrolled: 1-line block ×4, first 2 shown]
	s_waitcnt vmcnt(9)
	v_mul_f64 v[46:47], v[150:151], v[78:79]
	s_waitcnt vmcnt(1)
	v_mul_f64 v[40:41], v[180:181], v[110:111]
	;; [unrolled: 2-line block ×3, first 2 shown]
	v_mul_f64 v[190:191], v[2:3], v[106:107]
	v_fmac_f64_e32 v[184:185], v[2:3], v[104:105]
	v_mul_f64 v[188:189], v[182:183], v[110:111]
	v_fmac_f64_e32 v[14:15], v[130:131], v[202:203]
	v_accvgpr_write_b32 a76, v72
	v_accvgpr_write_b32 a75, v71
	;; [unrolled: 1-line block ×3, first 2 shown]
	v_mov_b64_e32 v[72:73], v[4:5]
	v_accvgpr_write_b32 a73, v69
	v_fmac_f64_e32 v[22:23], v[146:147], v[80:81]
	v_fmac_f64_e32 v[40:41], v[182:183], v[108:109]
	v_fma_f64 v[146:147], v[0:1], v[104:105], -v[190:191]
	v_add_f64 v[4:5], v[12:13], -v[184:185]
	v_mul_f64 v[10:11], v[138:139], v[68:69]
	v_mul_f64 v[24:25], v[148:149], v[78:79]
	;; [unrolled: 1-line block ×3, first 2 shown]
	v_fma_f64 v[124:125], v[132:133], v[70:71], -v[8:9]
	v_accvgpr_write_b32 a72, v68
	v_accvgpr_write_b32 a71, v67
	v_accvgpr_write_b32 a70, v66
	v_fmac_f64_e32 v[18:19], v[138:139], v[66:67]
	v_fma_f64 v[68:69], v[144:145], v[80:81], -v[44:45]
	v_fma_f64 v[138:139], v[148:149], v[76:77], -v[46:47]
	;; [unrolled: 1-line block ×3, first 2 shown]
	v_add_f64 v[218:219], v[50:51], v[146:147]
	v_add_f64 v[8:9], v[50:51], -v[146:147]
	v_mul_f64 v[148:149], v[4:5], s[36:37]
	v_add_f64 v[6:7], v[14:15], -v[40:41]
	v_mul_f64 v[42:43], v[142:143], v[86:87]
	v_mul_f64 v[20:21], v[140:141], v[86:87]
	;; [unrolled: 1-line block ×3, first 2 shown]
	v_accvgpr_write_b32 a78, v202
	v_fmac_f64_e32 v[16:17], v[134:135], v[70:71]
	v_fma_f64 v[136:137], v[136:137], v[66:67], -v[10:11]
	v_fmac_f64_e32 v[24:25], v[150:151], v[76:77]
	v_fmac_f64_e32 v[38:39], v[178:179], v[112:113]
	v_add_f64 v[220:221], v[12:13], v[184:185]
	v_mul_f64 v[150:151], v[8:9], s[36:37]
	v_fma_f64 v[0:1], s[6:7], v[218:219], v[148:149]
	v_add_f64 v[224:225], v[72:73], v[144:145]
	v_add_f64 v[10:11], v[72:73], -v[144:145]
	v_mul_f64 v[182:183], v[6:7], s[26:27]
	v_accvgpr_write_b32 a82, v206
	v_accvgpr_write_b32 a79, v203
	;; [unrolled: 1-line block ×4, first 2 shown]
	v_fma_f64 v[66:67], v[140:141], v[84:85], -v[42:43]
	v_fmac_f64_e32 v[20:21], v[142:143], v[84:85]
	v_fma_f64 v[142:143], v[176:177], v[112:113], -v[186:187]
	v_add_f64 v[0:1], v[120:121], v[0:1]
	v_fma_f64 v[2:3], v[220:221], s[6:7], -v[150:151]
	v_add_f64 v[226:227], v[14:15], v[40:41]
	v_fma_f64 v[42:43], s[18:19], v[224:225], v[182:183]
	v_mul_f64 v[204:205], v[10:11], s[26:27]
	v_add_f64 v[130:131], v[16:17], -v[38:39]
	v_mul_f64 v[36:37], v[172:173], v[118:119]
	v_accvgpr_write_b32 a83, v207
	v_accvgpr_write_b32 a84, v208
	;; [unrolled: 1-line block ×3, first 2 shown]
	v_add_f64 v[2:3], v[122:123], v[2:3]
	v_add_f64 v[0:1], v[42:43], v[0:1]
	v_fma_f64 v[42:43], v[226:227], s[18:19], -v[204:205]
	v_add_f64 v[232:233], v[124:125], v[142:143]
	v_mul_f64 v[206:207], v[130:131], s[34:35]
	v_add_f64 v[222:223], v[124:125], -v[142:143]
	v_fmac_f64_e32 v[36:37], v[174:175], v[116:117]
	v_add_f64 v[2:3], v[42:43], v[2:3]
	v_fma_f64 v[42:43], s[14:15], v[232:233], v[206:207]
	v_add_f64 v[234:235], v[16:17], v[38:39]
	v_mul_f64 v[252:253], v[222:223], s[34:35]
	v_mul_f64 v[64:65], v[174:175], v[118:119]
	v_add_f64 v[0:1], v[42:43], v[0:1]
	v_fma_f64 v[42:43], v[234:235], s[14:15], -v[252:253]
	v_add_f64 v[44:45], v[18:19], -v[36:37]
	v_fma_f64 v[64:65], v[172:173], v[116:117], -v[64:65]
	v_add_f64 v[2:3], v[42:43], v[2:3]
	v_mul_f64 v[42:43], v[44:45], s[40:41]
	v_add_f64 v[240:241], v[136:137], v[64:65]
	v_accvgpr_write_b32 a91, v43
	v_accvgpr_write_b32 a90, v42
	v_fma_f64 v[42:43], s[20:21], v[240:241], v[42:43]
	v_add_f64 v[178:179], v[136:137], -v[64:65]
	v_mul_f64 v[34:35], v[168:169], v[90:91]
	v_add_f64 v[0:1], v[42:43], v[0:1]
	v_mul_f64 v[42:43], v[178:179], s[40:41]
	v_fmac_f64_e32 v[34:35], v[170:171], v[88:89]
	v_add_f64 v[242:243], v[18:19], v[36:37]
	v_accvgpr_write_b32 a93, v43
	v_mul_f64 v[62:63], v[170:171], v[90:91]
	v_accvgpr_write_b32 a92, v42
	v_fma_f64 v[42:43], v[242:243], s[20:21], -v[42:43]
	v_add_f64 v[188:189], v[20:21], -v[34:35]
	v_fma_f64 v[62:63], v[168:169], v[88:89], -v[62:63]
	v_add_f64 v[2:3], v[42:43], v[2:3]
	v_mul_f64 v[42:43], v[188:189], s[44:45]
	v_add_f64 v[248:249], v[66:67], v[62:63]
	v_accvgpr_write_b32 a95, v43
	v_accvgpr_write_b32 a94, v42
	v_fma_f64 v[42:43], s[24:25], v[248:249], v[42:43]
	v_add_f64 v[186:187], v[66:67], -v[62:63]
	v_mul_f64 v[32:33], v[164:165], v[94:95]
	v_add_f64 v[0:1], v[42:43], v[0:1]
	v_mul_f64 v[42:43], v[186:187], s[44:45]
	v_fmac_f64_e32 v[32:33], v[166:167], v[92:93]
	v_add_f64 v[250:251], v[20:21], v[34:35]
	v_accvgpr_write_b32 a97, v43
	v_mul_f64 v[60:61], v[166:167], v[94:95]
	v_accvgpr_write_b32 a96, v42
	v_fma_f64 v[42:43], v[250:251], s[24:25], -v[42:43]
	v_add_f64 v[202:203], v[22:23], -v[32:33]
	v_fma_f64 v[60:61], v[164:165], v[92:93], -v[60:61]
	v_add_f64 v[2:3], v[42:43], v[2:3]
	v_mul_f64 v[42:43], v[202:203], s[46:47]
	v_add_f64 v[254:255], v[68:69], v[60:61]
	v_accvgpr_write_b32 a99, v43
	v_accvgpr_write_b32 a98, v42
	v_fma_f64 v[42:43], s[28:29], v[254:255], v[42:43]
	v_add_f64 v[190:191], v[68:69], -v[60:61]
	v_mul_f64 v[30:31], v[160:161], v[98:99]
	v_add_f64 v[0:1], v[42:43], v[0:1]
	v_mul_f64 v[42:43], v[190:191], s[46:47]
	v_fmac_f64_e32 v[30:31], v[162:163], v[96:97]
	v_add_f64 v[176:177], v[22:23], v[32:33]
	v_accvgpr_write_b32 a101, v43
	v_mul_f64 v[58:59], v[162:163], v[98:99]
	v_accvgpr_write_b32 a100, v42
	v_fma_f64 v[42:43], v[176:177], s[28:29], -v[42:43]
	v_add_f64 v[216:217], v[24:25], -v[30:31]
	v_fma_f64 v[58:59], v[160:161], v[96:97], -v[58:59]
	v_add_f64 v[2:3], v[42:43], v[2:3]
	v_mul_f64 v[42:43], v[216:217], s[48:49]
	v_add_f64 v[180:181], v[138:139], v[58:59]
	v_accvgpr_write_b32 a103, v43
	v_accvgpr_write_b32 a102, v42
	v_fma_f64 v[42:43], s[30:31], v[180:181], v[42:43]
	v_add_f64 v[208:209], v[138:139], -v[58:59]
	v_mul_f64 v[26:27], v[152:153], v[212:213]
	v_mul_f64 v[28:29], v[156:157], v[102:103]
	v_accvgpr_write_b32 a86, v210
	v_add_f64 v[0:1], v[42:43], v[0:1]
	v_mul_f64 v[42:43], v[208:209], s[48:49]
	v_mul_f64 v[48:49], v[154:155], v[212:213]
	v_accvgpr_write_b32 a87, v211
	v_accvgpr_write_b32 a88, v212
	;; [unrolled: 1-line block ×3, first 2 shown]
	v_fmac_f64_e32 v[26:27], v[154:155], v[210:211]
	v_fmac_f64_e32 v[28:29], v[158:159], v[100:101]
	v_add_f64 v[212:213], v[24:25], v[30:31]
	v_accvgpr_write_b32 a105, v43
	v_mul_f64 v[56:57], v[158:159], v[102:103]
	v_accvgpr_write_b32 a104, v42
	v_fma_f64 v[42:43], v[212:213], s[30:31], -v[42:43]
	v_add_f64 v[168:169], v[26:27], -v[28:29]
	v_fma_f64 v[48:49], v[152:153], v[210:211], -v[48:49]
	v_fma_f64 v[140:141], v[156:157], v[100:101], -v[56:57]
	v_accvgpr_write_b32 a187, v125
	v_add_f64 v[2:3], v[42:43], v[2:3]
	v_mul_f64 v[42:43], v[168:169], s[50:51]
	v_accvgpr_write_b32 a186, v124
	v_add_f64 v[124:125], v[48:49], v[140:141]
	v_accvgpr_write_b32 a107, v43
	v_accvgpr_write_b32 a106, v42
	v_fma_f64 v[42:43], s[38:39], v[124:125], v[42:43]
	v_add_f64 v[166:167], v[48:49], -v[140:141]
	v_add_f64 v[152:153], v[42:43], v[0:1]
	v_mul_f64 v[0:1], v[166:167], s[50:51]
	v_add_f64 v[236:237], v[26:27], v[28:29]
	v_accvgpr_write_b32 a109, v1
	v_accvgpr_write_b32 a108, v0
	v_fma_f64 v[0:1], v[236:237], s[38:39], -v[0:1]
	v_add_f64 v[154:155], v[0:1], v[2:3]
	v_mul_f64 v[0:1], v[4:5], s[26:27]
	v_accvgpr_write_b32 a111, v1
	v_mul_f64 v[2:3], v[6:7], s[40:41]
	v_accvgpr_write_b32 a110, v0
	v_fma_f64 v[0:1], s[18:19], v[218:219], v[0:1]
	v_accvgpr_write_b32 a113, v3
	v_add_f64 v[0:1], v[120:121], v[0:1]
	v_accvgpr_write_b32 a112, v2
	v_fma_f64 v[2:3], s[20:21], v[224:225], v[2:3]
	v_add_f64 v[0:1], v[2:3], v[0:1]
	v_mul_f64 v[2:3], v[8:9], s[26:27]
	v_accvgpr_write_b32 a119, v3
	v_mul_f64 v[42:43], v[10:11], s[40:41]
	v_accvgpr_write_b32 a118, v2
	v_fma_f64 v[2:3], v[220:221], s[18:19], -v[2:3]
	v_accvgpr_write_b32 a121, v43
	v_add_f64 v[2:3], v[122:123], v[2:3]
	v_accvgpr_write_b32 a120, v42
	v_fma_f64 v[42:43], v[226:227], s[20:21], -v[42:43]
	v_add_f64 v[2:3], v[42:43], v[2:3]
	v_mul_f64 v[42:43], v[130:131], s[46:47]
	v_accvgpr_write_b32 a115, v43
	v_accvgpr_write_b32 a114, v42
	v_fma_f64 v[42:43], s[28:29], v[232:233], v[42:43]
	v_add_f64 v[0:1], v[42:43], v[0:1]
	v_mul_f64 v[42:43], v[222:223], s[46:47]
	v_accvgpr_write_b32 a127, v43
	v_accvgpr_write_b32 a126, v42
	v_fma_f64 v[42:43], v[234:235], s[28:29], -v[42:43]
	v_add_f64 v[2:3], v[42:43], v[2:3]
	v_mul_f64 v[42:43], v[44:45], s[50:51]
	v_accvgpr_write_b32 a117, v43
	v_accvgpr_write_b32 a116, v42
	v_fma_f64 v[42:43], s[38:39], v[240:241], v[42:43]
	v_add_f64 v[0:1], v[42:43], v[0:1]
	v_mul_f64 v[42:43], v[178:179], s[50:51]
	v_accvgpr_write_b32 a131, v43
	;; [unrolled: 10-line block ×5, first 2 shown]
	v_accvgpr_write_b32 a136, v42
	v_fma_f64 v[46:47], v[212:213], s[14:15], -v[42:43]
	v_mul_f64 v[42:43], v[168:169], s[56:57]
	v_add_f64 v[2:3], v[46:47], v[2:3]
	v_fma_f64 v[46:47], s[6:7], v[124:125], v[42:43]
	v_add_f64 v[160:161], v[46:47], v[0:1]
	v_mul_f64 v[46:47], v[166:167], s[56:57]
	v_fma_f64 v[0:1], v[236:237], s[6:7], -v[46:47]
	v_add_f64 v[162:163], v[0:1], v[2:3]
	v_mul_f64 v[0:1], v[4:5], s[34:35]
	v_accvgpr_write_b32 a163, v1
	v_mul_f64 v[2:3], v[6:7], s[46:47]
	v_accvgpr_write_b32 a162, v0
	v_fma_f64 v[0:1], s[14:15], v[218:219], v[0:1]
	v_accvgpr_write_b32 a167, v3
	v_add_f64 v[0:1], v[120:121], v[0:1]
	v_accvgpr_write_b32 a166, v2
	v_fma_f64 v[2:3], s[28:29], v[224:225], v[2:3]
	v_mul_f64 v[164:165], v[8:9], s[34:35]
	v_add_f64 v[0:1], v[2:3], v[0:1]
	v_fma_f64 v[2:3], v[220:221], s[14:15], -v[164:165]
	v_mul_f64 v[172:173], v[10:11], s[46:47]
	v_add_f64 v[2:3], v[122:123], v[2:3]
	v_fma_f64 v[56:57], v[226:227], s[28:29], -v[172:173]
	v_mul_f64 v[214:215], v[130:131], s[54:55]
	v_add_f64 v[2:3], v[56:57], v[2:3]
	v_fma_f64 v[56:57], s[38:39], v[232:233], v[214:215]
	v_mul_f64 v[230:231], v[222:223], s[54:55]
	v_add_f64 v[0:1], v[56:57], v[0:1]
	v_fma_f64 v[56:57], v[234:235], s[38:39], -v[230:231]
	v_mul_f64 v[210:211], v[44:45], s[42:43]
	v_add_f64 v[2:3], v[56:57], v[2:3]
	v_fma_f64 v[56:57], s[24:25], v[240:241], v[210:211]
	;; [unrolled: 6-line block ×6, first 2 shown]
	v_mul_f64 v[128:129], v[166:167], s[48:49]
	v_add_f64 v[156:157], v[56:57], v[0:1]
	v_fma_f64 v[0:1], v[236:237], s[30:31], -v[128:129]
	v_add_f64 v[158:159], v[0:1], v[2:3]
	s_mov_b64 s[22:23], exec
	v_accvgpr_write_b32 a30, v196
	s_and_b64 s[62:63], s[22:23], s[2:3]
	v_accvgpr_write_b32 a31, v197
	s_mov_b64 exec, s[62:63]
	s_cbranch_execz .LBB0_11
; %bb.10:
	v_mul_f64 v[56:57], v[220:221], s[38:39]
	v_accvgpr_write_b32 a139, v59
	v_mul_f64 v[0:1], v[226:227], s[6:7]
	v_accvgpr_write_b32 a138, v58
	v_fma_f64 v[58:59], s[54:55], v[8:9], v[56:57]
	v_fma_f64 v[2:3], s[36:37], v[10:11], v[0:1]
	v_add_f64 v[58:59], v[122:123], v[58:59]
	v_add_f64 v[2:3], v[2:3], v[58:59]
	v_mul_f64 v[58:59], v[234:235], s[30:31]
	v_accvgpr_write_b32 a145, v61
	v_accvgpr_write_b32 a144, v60
	v_fma_f64 v[60:61], s[52:53], v[222:223], v[58:59]
	v_add_f64 v[2:3], v[60:61], v[2:3]
	v_mul_f64 v[60:61], v[242:243], s[18:19]
	v_accvgpr_write_b32 a147, v63
	v_accvgpr_write_b32 a146, v62
	v_fma_f64 v[62:63], s[26:27], v[178:179], v[60:61]
	v_add_f64 v[2:3], v[62:63], v[2:3]
	s_mov_b32 s63, 0x3fe9895b
	s_mov_b32 s62, s46
	v_mul_f64 v[62:63], v[250:251], s[28:29]
	v_accvgpr_write_b32 a149, v65
	v_accvgpr_write_b32 a148, v64
	v_fma_f64 v[64:65], s[62:63], v[186:187], v[62:63]
	v_add_f64 v[2:3], v[64:65], v[2:3]
	v_mul_f64 v[64:65], v[176:177], s[14:15]
	v_accvgpr_write_b32 a151, v137
	v_accvgpr_write_b32 a150, v136
	v_fma_f64 v[136:137], s[34:35], v[190:191], v[64:65]
	v_add_f64 v[2:3], v[136:137], v[2:3]
	;; [unrolled: 5-line block ×3, first 2 shown]
	v_mul_f64 v[138:139], v[4:5], s[50:51]
	v_accvgpr_write_b32 a161, v141
	v_accvgpr_write_b32 a155, v143
	;; [unrolled: 1-line block ×3, first 2 shown]
	v_fma_f64 v[140:141], s[38:39], v[218:219], v[138:139]
	v_accvgpr_write_b32 a154, v142
	v_mul_f64 v[142:143], v[6:7], s[56:57]
	v_accvgpr_write_b32 a157, v145
	v_add_f64 v[140:141], v[120:121], v[140:141]
	v_accvgpr_write_b32 a156, v144
	v_fma_f64 v[144:145], s[6:7], v[224:225], v[142:143]
	v_add_f64 v[140:141], v[144:145], v[140:141]
	v_mul_f64 v[144:145], v[130:131], s[48:49]
	v_accvgpr_write_b32 a159, v147
	v_accvgpr_write_b32 a158, v146
	v_fma_f64 v[146:147], s[30:31], v[232:233], v[144:145]
	v_add_f64 v[140:141], v[146:147], v[140:141]
	v_mul_f64 v[146:147], v[44:45], s[58:59]
	v_accvgpr_write_b32 a177, v149
	v_accvgpr_write_b32 a176, v148
	v_fma_f64 v[148:149], s[18:19], v[240:241], v[146:147]
	v_fmac_f64_e32 v[56:57], s[50:51], v[8:9]
	v_add_f64 v[140:141], v[148:149], v[140:141]
	v_mul_f64 v[148:149], v[188:189], s[46:47]
	v_accvgpr_write_b32 a179, v151
	v_fmac_f64_e32 v[0:1], s[56:57], v[10:11]
	v_add_f64 v[56:57], v[122:123], v[56:57]
	v_accvgpr_write_b32 a178, v150
	v_fma_f64 v[150:151], s[28:29], v[248:249], v[148:149]
	v_add_f64 v[0:1], v[0:1], v[56:57]
	v_fmac_f64_e32 v[58:59], s[48:49], v[222:223]
	v_add_f64 v[140:141], v[150:151], v[140:141]
	v_mul_f64 v[150:151], v[202:203], s[60:61]
	v_accvgpr_write_b32 a165, v67
	v_add_f64 v[0:1], v[58:59], v[0:1]
	v_fma_f64 v[58:59], v[218:219], s[38:39], -v[138:139]
	v_accvgpr_write_b32 a164, v66
	v_fma_f64 v[66:67], s[14:15], v[254:255], v[150:151]
	v_fma_f64 v[56:57], v[224:225], s[6:7], -v[142:143]
	v_add_f64 v[58:59], v[120:121], v[58:59]
	v_add_f64 v[66:67], v[66:67], v[140:141]
	v_mul_f64 v[140:141], v[216:217], s[44:45]
	v_accvgpr_write_b32 a175, v51
	v_fmac_f64_e32 v[60:61], s[58:59], v[178:179]
	v_add_f64 v[56:57], v[56:57], v[58:59]
	v_fma_f64 v[58:59], v[232:233], s[30:31], -v[144:145]
	v_accvgpr_write_b32 a174, v50
	v_mov_b32_e32 v50, v246
	v_fma_f64 v[246:247], s[24:25], v[180:181], v[140:141]
	v_add_f64 v[0:1], v[60:61], v[0:1]
	v_fmac_f64_e32 v[62:63], s[46:47], v[186:187]
	v_add_f64 v[56:57], v[58:59], v[56:57]
	v_fma_f64 v[58:59], v[240:241], s[18:19], -v[146:147]
	v_add_f64 v[66:67], v[246:247], v[66:67]
	v_mul_f64 v[246:247], v[236:237], s[20:21]
	v_accvgpr_write_b32 a180, v252
	v_add_f64 v[0:1], v[62:63], v[0:1]
	v_fmac_f64_e32 v[64:65], s[60:61], v[190:191]
	v_add_f64 v[56:57], v[58:59], v[56:57]
	v_fma_f64 v[58:59], v[248:249], s[28:29], -v[148:149]
	v_accvgpr_write_b32 a169, v69
	v_accvgpr_write_b32 a181, v253
	v_fma_f64 v[252:253], s[40:41], v[166:167], v[246:247]
	s_mov_b32 s65, 0x3fefdd0d
	s_mov_b32 s64, s40
	v_add_f64 v[0:1], v[64:65], v[0:1]
	v_fmac_f64_e32 v[136:137], s[44:45], v[208:209]
	v_add_f64 v[56:57], v[58:59], v[56:57]
	v_fma_f64 v[58:59], v[254:255], s[14:15], -v[150:151]
	v_accvgpr_write_b32 a168, v68
	v_add_f64 v[68:69], v[252:253], v[2:3]
	v_mul_f64 v[2:3], v[168:169], s[64:65]
	v_add_f64 v[0:1], v[136:137], v[0:1]
	v_add_f64 v[56:57], v[58:59], v[56:57]
	v_fma_f64 v[58:59], v[180:181], s[24:25], -v[140:141]
	v_fmac_f64_e32 v[246:247], s[64:65], v[166:167]
	v_add_f64 v[56:57], v[58:59], v[56:57]
	v_add_f64 v[58:59], v[246:247], v[0:1]
	v_fma_f64 v[0:1], v[124:125], s[20:21], -v[2:3]
	v_add_f64 v[56:57], v[0:1], v[56:57]
	v_accvgpr_write_b32 a173, v59
	v_mul_f64 v[0:1], v[220:221], s[30:31]
	v_fma_f64 v[252:253], s[20:21], v[124:125], v[2:3]
	v_accvgpr_write_b32 a172, v58
	v_accvgpr_write_b32 a171, v57
	;; [unrolled: 1-line block ×3, first 2 shown]
	v_fma_f64 v[2:3], s[52:53], v[8:9], v[0:1]
	v_mul_f64 v[56:57], v[226:227], s[14:15]
	v_add_f64 v[2:3], v[122:123], v[2:3]
	v_fma_f64 v[58:59], s[34:35], v[10:11], v[56:57]
	v_add_f64 v[2:3], v[58:59], v[2:3]
	v_mul_f64 v[58:59], v[234:235], s[20:21]
	v_fma_f64 v[60:61], s[64:65], v[222:223], v[58:59]
	v_add_f64 v[2:3], v[60:61], v[2:3]
	v_mul_f64 v[60:61], v[242:243], s[28:29]
	;; [unrolled: 3-line block ×3, first 2 shown]
	v_fma_f64 v[64:65], s[56:57], v[186:187], v[62:63]
	v_add_f64 v[66:67], v[252:253], v[66:67]
	v_accvgpr_write_b32 a143, v69
	v_add_f64 v[2:3], v[64:65], v[2:3]
	v_mul_f64 v[64:65], v[176:177], s[38:39]
	v_accvgpr_write_b32 a142, v68
	v_accvgpr_write_b32 a141, v67
	;; [unrolled: 1-line block ×3, first 2 shown]
	v_fma_f64 v[66:67], s[54:55], v[190:191], v[64:65]
	v_add_f64 v[2:3], v[66:67], v[2:3]
	v_mul_f64 v[66:67], v[212:213], s[18:19]
	v_fma_f64 v[136:137], s[26:27], v[208:209], v[66:67]
	v_add_f64 v[2:3], v[136:137], v[2:3]
	v_mul_f64 v[136:137], v[4:5], s[48:49]
	v_fma_f64 v[138:139], s[30:31], v[218:219], v[136:137]
	v_mul_f64 v[140:141], v[6:7], s[60:61]
	v_add_f64 v[138:139], v[120:121], v[138:139]
	v_fma_f64 v[142:143], s[14:15], v[224:225], v[140:141]
	v_add_f64 v[138:139], v[142:143], v[138:139]
	v_mul_f64 v[142:143], v[130:131], s[40:41]
	v_fma_f64 v[144:145], s[20:21], v[232:233], v[142:143]
	v_add_f64 v[138:139], v[144:145], v[138:139]
	v_mul_f64 v[144:145], v[44:45], s[62:63]
	;; [unrolled: 3-line block ×3, first 2 shown]
	v_fmac_f64_e32 v[0:1], s[48:49], v[8:9]
	v_fma_f64 v[148:149], s[6:7], v[248:249], v[146:147]
	v_fmac_f64_e32 v[56:57], s[60:61], v[10:11]
	v_add_f64 v[0:1], v[122:123], v[0:1]
	v_add_f64 v[138:139], v[148:149], v[138:139]
	v_mul_f64 v[148:149], v[202:203], s[50:51]
	v_add_f64 v[0:1], v[56:57], v[0:1]
	v_fmac_f64_e32 v[58:59], s[40:41], v[222:223]
	v_fma_f64 v[150:151], s[38:39], v[254:255], v[148:149]
	v_add_f64 v[0:1], v[58:59], v[0:1]
	v_fma_f64 v[58:59], v[218:219], s[30:31], -v[136:137]
	v_add_f64 v[138:139], v[150:151], v[138:139]
	v_mul_f64 v[150:151], v[216:217], s[58:59]
	v_fma_f64 v[56:57], v[224:225], s[14:15], -v[140:141]
	v_add_f64 v[58:59], v[120:121], v[58:59]
	v_fma_f64 v[246:247], s[18:19], v[180:181], v[150:151]
	v_fmac_f64_e32 v[60:61], s[62:63], v[178:179]
	v_add_f64 v[56:57], v[56:57], v[58:59]
	v_fma_f64 v[58:59], v[232:233], s[20:21], -v[142:143]
	v_add_f64 v[138:139], v[246:247], v[138:139]
	v_mul_f64 v[246:247], v[236:237], s[24:25]
	v_add_f64 v[0:1], v[60:61], v[0:1]
	v_fmac_f64_e32 v[62:63], s[36:37], v[186:187]
	v_add_f64 v[56:57], v[58:59], v[56:57]
	v_fma_f64 v[58:59], v[240:241], s[28:29], -v[144:145]
	v_fma_f64 v[252:253], s[42:43], v[166:167], v[246:247]
	v_add_f64 v[0:1], v[62:63], v[0:1]
	v_fmac_f64_e32 v[64:65], s[50:51], v[190:191]
	v_add_f64 v[56:57], v[58:59], v[56:57]
	v_fma_f64 v[58:59], v[248:249], s[6:7], -v[146:147]
	v_add_f64 v[70:71], v[252:253], v[2:3]
	v_mul_f64 v[2:3], v[168:169], s[44:45]
	v_add_f64 v[0:1], v[64:65], v[0:1]
	v_fmac_f64_e32 v[66:67], s[58:59], v[208:209]
	v_add_f64 v[56:57], v[58:59], v[56:57]
	v_fma_f64 v[58:59], v[254:255], s[38:39], -v[148:149]
	v_fma_f64 v[252:253], s[24:25], v[124:125], v[2:3]
	v_add_f64 v[0:1], v[66:67], v[0:1]
	v_add_f64 v[56:57], v[58:59], v[56:57]
	v_fma_f64 v[58:59], v[180:181], s[18:19], -v[150:151]
	v_fmac_f64_e32 v[246:247], s[44:45], v[166:167]
	v_add_f64 v[68:69], v[252:253], v[138:139]
	v_add_f64 v[56:57], v[58:59], v[56:57]
	;; [unrolled: 1-line block ×3, first 2 shown]
	v_fma_f64 v[0:1], v[124:125], s[24:25], -v[2:3]
	v_add_f64 v[136:137], v[0:1], v[56:57]
	v_mul_f64 v[0:1], v[220:221], s[28:29]
	v_fma_f64 v[2:3], s[62:63], v[8:9], v[0:1]
	v_mul_f64 v[56:57], v[226:227], s[24:25]
	v_add_f64 v[2:3], v[122:123], v[2:3]
	v_fma_f64 v[58:59], s[44:45], v[10:11], v[56:57]
	v_add_f64 v[2:3], v[58:59], v[2:3]
	v_mul_f64 v[58:59], v[234:235], s[6:7]
	v_fma_f64 v[60:61], s[56:57], v[222:223], v[58:59]
	v_add_f64 v[2:3], v[60:61], v[2:3]
	v_mul_f64 v[60:61], v[242:243], s[30:31]
	;; [unrolled: 3-line block ×5, first 2 shown]
	v_fma_f64 v[140:141], s[54:55], v[208:209], v[66:67]
	v_mul_f64 v[144:145], v[4:5], s[46:47]
	v_add_f64 v[2:3], v[140:141], v[2:3]
	v_fma_f64 v[140:141], s[28:29], v[218:219], v[144:145]
	v_mul_f64 v[146:147], v[6:7], s[42:43]
	v_add_f64 v[140:141], v[120:121], v[140:141]
	;; [unrolled: 3-line block ×5, first 2 shown]
	v_fma_f64 v[142:143], s[20:21], v[248:249], v[246:247]
	v_mul_f64 v[252:253], v[202:203], s[26:27]
	v_accvgpr_write_b32 a188, v204
	v_accvgpr_write_b32 a185, v71
	v_add_f64 v[140:141], v[142:143], v[140:141]
	v_fma_f64 v[142:143], s[18:19], v[254:255], v[252:253]
	v_accvgpr_write_b32 a189, v205
	v_mul_f64 v[204:205], v[216:217], s[50:51]
	v_accvgpr_write_b32 a184, v70
	v_accvgpr_write_b32 a183, v69
	;; [unrolled: 1-line block ×3, first 2 shown]
	v_add_f64 v[140:141], v[142:143], v[140:141]
	v_fma_f64 v[142:143], s[38:39], v[180:181], v[204:205]
	v_mov_b64_e32 v[70:71], v[182:183]
	v_mul_f64 v[182:183], v[236:237], s[14:15]
	v_add_f64 v[140:141], v[142:143], v[140:141]
	v_fma_f64 v[142:143], s[34:35], v[166:167], v[182:183]
	v_fmac_f64_e32 v[0:1], s[46:47], v[8:9]
	v_add_f64 v[142:143], v[142:143], v[2:3]
	v_mul_f64 v[2:3], v[168:169], s[60:61]
	v_accvgpr_write_b32 a191, v43
	v_fmac_f64_e32 v[56:57], s[42:43], v[10:11]
	v_add_f64 v[0:1], v[122:123], v[0:1]
	v_accvgpr_write_b32 a190, v42
	v_fma_f64 v[42:43], s[14:15], v[124:125], v[2:3]
	v_add_f64 v[0:1], v[56:57], v[0:1]
	v_fma_f64 v[56:57], v[218:219], s[28:29], -v[144:145]
	v_add_f64 v[140:141], v[42:43], v[140:141]
	v_fmac_f64_e32 v[58:59], s[36:37], v[222:223]
	v_fma_f64 v[42:43], v[224:225], s[24:25], -v[146:147]
	v_add_f64 v[56:57], v[120:121], v[56:57]
	v_add_f64 v[0:1], v[58:59], v[0:1]
	v_fmac_f64_e32 v[60:61], s[48:49], v[178:179]
	v_add_f64 v[42:43], v[42:43], v[56:57]
	v_fma_f64 v[56:57], v[232:233], s[6:7], -v[148:149]
	v_add_f64 v[0:1], v[60:61], v[0:1]
	v_fmac_f64_e32 v[62:63], s[64:65], v[186:187]
	v_add_f64 v[42:43], v[56:57], v[42:43]
	v_fma_f64 v[56:57], v[240:241], s[30:31], -v[150:151]
	;; [unrolled: 4-line block ×4, first 2 shown]
	v_add_f64 v[0:1], v[66:67], v[0:1]
	v_add_f64 v[42:43], v[56:57], v[42:43]
	v_fma_f64 v[56:57], v[180:181], s[38:39], -v[204:205]
	v_fmac_f64_e32 v[182:183], s[60:61], v[166:167]
	v_add_f64 v[42:43], v[56:57], v[42:43]
	v_add_f64 v[146:147], v[182:183], v[0:1]
	v_fma_f64 v[0:1], v[124:125], s[14:15], -v[2:3]
	v_add_f64 v[144:145], v[0:1], v[42:43]
	v_mul_f64 v[0:1], v[220:221], s[24:25]
	v_fma_f64 v[2:3], s[42:43], v[8:9], v[0:1]
	v_mul_f64 v[42:43], v[226:227], s[30:31]
	v_add_f64 v[2:3], v[122:123], v[2:3]
	v_fma_f64 v[56:57], s[48:49], v[10:11], v[42:43]
	v_add_f64 v[2:3], v[56:57], v[2:3]
	v_mul_f64 v[56:57], v[234:235], s[18:19]
	v_fma_f64 v[58:59], s[26:27], v[222:223], v[56:57]
	v_add_f64 v[2:3], v[58:59], v[2:3]
	v_mul_f64 v[58:59], v[242:243], s[14:15]
	;; [unrolled: 3-line block ×6, first 2 shown]
	v_fma_f64 v[148:149], s[24:25], v[218:219], v[66:67]
	v_mul_f64 v[182:183], v[6:7], s[52:53]
	v_add_f64 v[148:149], v[120:121], v[148:149]
	v_fma_f64 v[150:151], s[30:31], v[224:225], v[182:183]
	v_mul_f64 v[204:205], v[130:131], s[58:59]
	v_add_f64 v[148:149], v[150:151], v[148:149]
	;; [unrolled: 3-line block ×4, first 2 shown]
	v_fma_f64 v[150:151], s[38:39], v[248:249], v[252:253]
	v_mov_b64_e32 v[68:69], v[46:47]
	v_mul_f64 v[46:47], v[202:203], s[64:65]
	v_accvgpr_write_b32 a194, v206
	v_add_f64 v[148:149], v[150:151], v[148:149]
	v_fma_f64 v[150:151], s[20:21], v[254:255], v[46:47]
	v_accvgpr_write_b32 a195, v207
	v_mul_f64 v[206:207], v[216:217], s[36:37]
	v_accvgpr_write_b32 a193, v49
	v_add_f64 v[148:149], v[150:151], v[148:149]
	v_fma_f64 v[150:151], s[6:7], v[180:181], v[206:207]
	v_accvgpr_write_b32 a192, v48
	v_mul_f64 v[48:49], v[236:237], s[28:29]
	v_fmac_f64_e32 v[0:1], s[44:45], v[8:9]
	v_add_f64 v[148:149], v[150:151], v[148:149]
	v_fma_f64 v[150:151], s[62:63], v[166:167], v[48:49]
	v_mul_f64 v[196:197], v[168:169], s[46:47]
	v_fmac_f64_e32 v[42:43], s[52:53], v[10:11]
	v_add_f64 v[0:1], v[122:123], v[0:1]
	v_add_f64 v[150:151], v[150:151], v[2:3]
	v_fma_f64 v[2:3], s[28:29], v[124:125], v[196:197]
	v_add_f64 v[0:1], v[42:43], v[0:1]
	v_fma_f64 v[42:43], v[218:219], s[24:25], -v[66:67]
	v_add_f64 v[148:149], v[2:3], v[148:149]
	v_fmac_f64_e32 v[56:57], s[58:59], v[222:223]
	v_fma_f64 v[2:3], v[224:225], s[30:31], -v[182:183]
	v_add_f64 v[42:43], v[120:121], v[42:43]
	v_add_f64 v[0:1], v[56:57], v[0:1]
	v_fmac_f64_e32 v[58:59], s[34:35], v[178:179]
	v_add_f64 v[2:3], v[2:3], v[42:43]
	v_fma_f64 v[42:43], v[232:233], s[18:19], -v[204:205]
	v_add_f64 v[0:1], v[58:59], v[0:1]
	v_fmac_f64_e32 v[60:61], s[50:51], v[186:187]
	v_add_f64 v[2:3], v[42:43], v[2:3]
	v_fma_f64 v[42:43], v[240:241], s[14:15], -v[246:247]
	;; [unrolled: 4-line block ×4, first 2 shown]
	v_add_f64 v[0:1], v[64:65], v[0:1]
	v_add_f64 v[2:3], v[42:43], v[2:3]
	v_fma_f64 v[42:43], v[180:181], s[6:7], -v[206:207]
	v_fmac_f64_e32 v[48:49], s[46:47], v[166:167]
	v_add_f64 v[42:43], v[42:43], v[2:3]
	v_add_f64 v[2:3], v[48:49], v[0:1]
	v_fma_f64 v[0:1], v[124:125], s[28:29], -v[196:197]
	v_add_f64 v[0:1], v[0:1], v[42:43]
	v_mul_f64 v[42:43], v[220:221], s[20:21]
	v_fma_f64 v[46:47], s[64:65], v[8:9], v[42:43]
	v_mul_f64 v[48:49], v[226:227], s[38:39]
	v_add_f64 v[46:47], v[122:123], v[46:47]
	v_fma_f64 v[56:57], s[54:55], v[10:11], v[48:49]
	v_add_f64 v[46:47], v[56:57], v[46:47]
	v_mul_f64 v[56:57], v[234:235], s[24:25]
	v_fma_f64 v[58:59], s[44:45], v[222:223], v[56:57]
	v_add_f64 v[46:47], v[58:59], v[46:47]
	v_mul_f64 v[58:59], v[242:243], s[6:7]
	;; [unrolled: 3-line block ×5, first 2 shown]
	v_fma_f64 v[66:67], s[46:47], v[208:209], v[64:65]
	v_mul_f64 v[182:183], v[4:5], s[40:41]
	v_add_f64 v[46:47], v[66:67], v[46:47]
	v_mul_f64 v[66:67], v[6:7], s[50:51]
	v_fma_f64 v[4:5], s[20:21], v[218:219], v[182:183]
	v_add_f64 v[4:5], v[120:121], v[4:5]
	v_fma_f64 v[6:7], s[38:39], v[224:225], v[66:67]
	v_mul_f64 v[130:131], v[130:131], s[42:43]
	v_add_f64 v[4:5], v[6:7], v[4:5]
	v_fma_f64 v[6:7], s[24:25], v[232:233], v[130:131]
	v_mul_f64 v[44:45], v[44:45], s[56:57]
	;; [unrolled: 3-line block ×5, first 2 shown]
	v_fmac_f64_e32 v[42:43], s[40:41], v[8:9]
	v_add_f64 v[4:5], v[6:7], v[4:5]
	v_fma_f64 v[6:7], s[28:29], v[180:181], v[202:203]
	v_mul_f64 v[204:205], v[236:237], s[18:19]
	v_fmac_f64_e32 v[48:49], s[50:51], v[10:11]
	v_add_f64 v[8:9], v[122:123], v[42:43]
	v_fma_f64 v[42:43], v[218:219], s[20:21], -v[182:183]
	v_add_f64 v[4:5], v[6:7], v[4:5]
	v_fma_f64 v[6:7], s[26:27], v[166:167], v[204:205]
	v_fmac_f64_e32 v[56:57], s[42:43], v[222:223]
	v_add_f64 v[8:9], v[48:49], v[8:9]
	v_fma_f64 v[10:11], v[224:225], s[38:39], -v[66:67]
	v_add_f64 v[42:43], v[120:121], v[42:43]
	v_add_f64 v[6:7], v[6:7], v[46:47]
	v_mul_f64 v[46:47], v[168:169], s[58:59]
	v_fmac_f64_e32 v[58:59], s[56:57], v[178:179]
	v_add_f64 v[8:9], v[56:57], v[8:9]
	v_add_f64 v[10:11], v[10:11], v[42:43]
	v_fma_f64 v[42:43], v[232:233], s[24:25], -v[130:131]
	v_mov_b32_e32 v246, v50
	v_fma_f64 v[168:169], s[18:19], v[124:125], v[46:47]
	v_fmac_f64_e32 v[60:61], s[34:35], v[186:187]
	v_add_f64 v[8:9], v[58:59], v[8:9]
	v_add_f64 v[10:11], v[42:43], v[10:11]
	v_fma_f64 v[42:43], v[240:241], s[6:7], -v[44:45]
	v_accvgpr_read_b32 v50, a166
	v_add_f64 v[4:5], v[168:169], v[4:5]
	v_fmac_f64_e32 v[62:63], s[48:49], v[190:191]
	v_add_f64 v[8:9], v[60:61], v[8:9]
	v_add_f64 v[10:11], v[42:43], v[10:11]
	v_fma_f64 v[42:43], v[248:249], s[14:15], -v[188:189]
	v_mul_f64 v[168:169], v[224:225], s[28:29]
	v_accvgpr_read_b32 v51, a167
	v_fmac_f64_e32 v[64:65], s[62:63], v[208:209]
	v_add_f64 v[8:9], v[62:63], v[8:9]
	v_add_f64 v[10:11], v[42:43], v[10:11]
	v_fma_f64 v[42:43], v[254:255], s[30:31], -v[196:197]
	v_mul_f64 v[62:63], v[220:221], s[14:15]
	v_add_f64 v[168:169], v[168:169], -v[50:51]
	v_accvgpr_read_b32 v50, a162
	v_fmac_f64_e32 v[204:205], s[58:59], v[166:167]
	v_add_f64 v[8:9], v[64:65], v[8:9]
	v_add_f64 v[10:11], v[42:43], v[10:11]
	v_fma_f64 v[42:43], v[180:181], s[28:29], -v[202:203]
	v_mul_f64 v[60:61], v[226:227], s[28:29]
	v_add_f64 v[62:63], v[164:165], v[62:63]
	v_mul_f64 v[66:67], v[218:219], s[14:15]
	v_accvgpr_read_b32 v51, a163
	v_add_f64 v[42:43], v[42:43], v[10:11]
	v_add_f64 v[10:11], v[204:205], v[8:9]
	v_fma_f64 v[8:9], v[124:125], s[18:19], -v[46:47]
	v_mul_f64 v[46:47], v[176:177], s[6:7]
	v_mul_f64 v[48:49], v[250:251], s[18:19]
	;; [unrolled: 1-line block ×3, first 2 shown]
	v_add_f64 v[60:61], v[172:173], v[60:61]
	v_add_f64 v[62:63], v[122:123], v[62:63]
	v_add_f64 v[66:67], v[66:67], -v[50:51]
	v_add_f64 v[46:47], v[134:135], v[46:47]
	v_add_f64 v[48:49], v[132:133], v[48:49]
	v_mul_f64 v[56:57], v[242:243], s[24:25]
	v_add_f64 v[58:59], v[230:231], v[58:59]
	v_add_f64 v[60:61], v[60:61], v[62:63]
	v_mul_f64 v[132:133], v[248:249], s[18:19]
	v_mul_f64 v[134:135], v[232:233], s[38:39]
	v_add_f64 v[66:67], v[120:121], v[66:67]
	v_add_f64 v[56:57], v[238:239], v[56:57]
	;; [unrolled: 1-line block ×3, first 2 shown]
	v_add_f64 v[126:127], v[132:133], -v[126:127]
	v_mul_f64 v[132:133], v[240:241], s[24:25]
	v_add_f64 v[134:135], v[134:135], -v[214:215]
	v_add_f64 v[66:67], v[168:169], v[66:67]
	v_add_f64 v[56:57], v[56:57], v[58:59]
	v_add_f64 v[132:133], v[132:133], -v[210:211]
	v_add_f64 v[66:67], v[134:135], v[66:67]
	v_add_f64 v[8:9], v[8:9], v[42:43]
	v_mul_f64 v[42:43], v[236:237], s[30:31]
	v_mul_f64 v[44:45], v[212:213], s[20:21]
	v_add_f64 v[48:49], v[48:49], v[56:57]
	v_mul_f64 v[130:131], v[254:255], s[6:7]
	v_add_f64 v[66:67], v[132:133], v[66:67]
	v_add_f64 v[42:43], v[128:129], v[42:43]
	;; [unrolled: 1-line block ×4, first 2 shown]
	v_mul_f64 v[128:129], v[180:181], s[20:21]
	v_add_f64 v[130:131], v[130:131], -v[228:229]
	v_add_f64 v[66:67], v[126:127], v[66:67]
	v_add_f64 v[44:45], v[44:45], v[46:47]
	v_add_f64 v[128:129], v[128:129], -v[170:171]
	v_add_f64 v[66:67], v[130:131], v[66:67]
	v_accvgpr_read_b32 v50, a136
	v_add_f64 v[66:67], v[128:129], v[66:67]
	v_add_f64 v[128:129], v[42:43], v[44:45]
	v_mul_f64 v[44:45], v[212:213], s[14:15]
	v_accvgpr_read_b32 v51, a137
	v_add_f64 v[44:45], v[50:51], v[44:45]
	v_accvgpr_read_b32 v50, a134
	v_mul_f64 v[202:203], v[176:177], s[28:29]
	v_mul_f64 v[176:177], v[176:177], s[24:25]
	v_accvgpr_read_b32 v51, a135
	v_add_f64 v[176:177], v[50:51], v[176:177]
	v_accvgpr_read_b32 v50, a132
	v_mul_f64 v[196:197], v[250:251], s[30:31]
	v_accvgpr_read_b32 v51, a133
	v_add_f64 v[196:197], v[50:51], v[196:197]
	v_accvgpr_read_b32 v50, a130
	;; [unrolled: 4-line block ×5, first 2 shown]
	v_mul_f64 v[64:65], v[220:221], s[18:19]
	v_accvgpr_read_b32 v51, a119
	v_add_f64 v[64:65], v[50:51], v[64:65]
	v_add_f64 v[64:65], v[122:123], v[64:65]
	;; [unrolled: 1-line block ×5, first 2 shown]
	v_mul_f64 v[46:47], v[124:125], s[30:31]
	v_add_f64 v[64:65], v[196:197], v[64:65]
	v_add_f64 v[46:47], v[46:47], -v[174:175]
	v_mul_f64 v[42:43], v[236:237], s[6:7]
	v_add_f64 v[64:65], v[176:177], v[64:65]
	v_accvgpr_read_b32 v50, a128
	v_add_f64 v[126:127], v[46:47], v[66:67]
	v_mul_f64 v[46:47], v[180:181], s[30:31]
	v_add_f64 v[42:43], v[68:69], v[42:43]
	v_mul_f64 v[180:181], v[180:181], s[14:15]
	v_add_f64 v[44:45], v[44:45], v[64:65]
	v_accvgpr_read_b32 v51, a129
	v_add_f64 v[44:45], v[42:43], v[44:45]
	v_accvgpr_read_b32 v42, a190
	v_add_f64 v[64:65], v[180:181], -v[50:51]
	v_accvgpr_read_b32 v50, a124
	v_mul_f64 v[204:205], v[254:255], s[24:25]
	v_mul_f64 v[206:207], v[124:125], s[38:39]
	;; [unrolled: 1-line block ×3, first 2 shown]
	v_accvgpr_read_b32 v43, a191
	v_accvgpr_read_b32 v51, a125
	v_add_f64 v[42:43], v[124:125], -v[42:43]
	v_add_f64 v[124:125], v[204:205], -v[50:51]
	v_accvgpr_read_b32 v50, a122
	v_mul_f64 v[190:191], v[248:249], s[30:31]
	v_accvgpr_read_b32 v51, a123
	v_add_f64 v[166:167], v[190:191], -v[50:51]
	v_accvgpr_read_b32 v50, a116
	v_mul_f64 v[182:183], v[240:241], s[38:39]
	v_accvgpr_read_b32 v51, a117
	;; [unrolled: 4-line block ×5, first 2 shown]
	v_add_f64 v[58:59], v[58:59], -v[50:51]
	v_add_f64 v[58:59], v[120:121], v[58:59]
	v_add_f64 v[12:13], v[122:123], v[12:13]
	;; [unrolled: 1-line block ×11, first 2 shown]
	v_accvgpr_read_b32 v50, a108
	v_add_f64 v[12:13], v[12:13], v[22:23]
	v_mul_f64 v[208:209], v[236:237], s[38:39]
	v_add_f64 v[58:59], v[64:65], v[58:59]
	v_accvgpr_read_b32 v51, a109
	v_add_f64 v[12:13], v[12:13], v[24:25]
	v_add_f64 v[42:43], v[42:43], v[58:59]
	v_add_f64 v[58:59], v[50:51], v[208:209]
	v_accvgpr_read_b32 v50, a104
	v_add_f64 v[12:13], v[12:13], v[26:27]
	v_mul_f64 v[66:67], v[212:213], s[30:31]
	v_accvgpr_read_b32 v51, a105
	v_add_f64 v[12:13], v[12:13], v[28:29]
	v_add_f64 v[64:65], v[50:51], v[66:67]
	v_accvgpr_read_b32 v50, a100
	v_add_f64 v[12:13], v[12:13], v[30:31]
	v_accvgpr_read_b32 v51, a101
	v_add_f64 v[12:13], v[12:13], v[32:33]
	v_add_f64 v[66:67], v[50:51], v[202:203]
	v_accvgpr_read_b32 v50, a96
	v_add_f64 v[12:13], v[12:13], v[34:35]
	v_mul_f64 v[188:189], v[250:251], s[24:25]
	v_accvgpr_read_b32 v51, a97
	v_add_f64 v[12:13], v[12:13], v[36:37]
	v_add_f64 v[124:125], v[50:51], v[188:189]
	v_accvgpr_read_b32 v50, a92
	v_add_f64 v[12:13], v[12:13], v[38:39]
	v_mul_f64 v[134:135], v[242:243], s[20:21]
	v_accvgpr_read_b32 v51, a93
	v_add_f64 v[12:13], v[12:13], v[40:41]
	v_add_f64 v[134:135], v[50:51], v[134:135]
	v_accvgpr_read_b32 v50, a180
	v_add_f64 v[14:15], v[12:13], v[184:185]
	v_accvgpr_read_b32 v12, a174
	v_mul_f64 v[172:173], v[234:235], s[14:15]
	v_accvgpr_read_b32 v51, a181
	v_accvgpr_read_b32 v13, a175
	v_add_f64 v[164:165], v[50:51], v[172:173]
	v_accvgpr_read_b32 v50, a188
	v_add_f64 v[12:13], v[120:121], v[12:13]
	v_accvgpr_read_b32 v16, a186
	v_mul_f64 v[48:49], v[226:227], s[18:19]
	v_accvgpr_read_b32 v51, a189
	v_add_f64 v[12:13], v[12:13], v[72:73]
	v_accvgpr_read_b32 v17, a187
	v_add_f64 v[48:49], v[50:51], v[48:49]
	;; [unrolled: 2-line block ×3, first 2 shown]
	v_accvgpr_read_b32 v16, a150
	v_mul_f64 v[60:61], v[220:221], s[6:7]
	v_accvgpr_read_b32 v51, a179
	v_accvgpr_read_b32 v17, a151
	v_add_f64 v[60:61], v[50:51], v[60:61]
	v_add_f64 v[12:13], v[12:13], v[16:17]
	v_accvgpr_read_b32 v16, a164
	v_add_f64 v[60:61], v[122:123], v[60:61]
	v_accvgpr_read_b32 v17, a165
	v_add_f64 v[48:49], v[48:49], v[60:61]
	v_add_f64 v[12:13], v[12:13], v[16:17]
	v_accvgpr_read_b32 v16, a168
	v_add_f64 v[48:49], v[164:165], v[48:49]
	;; [unrolled: 5-line block ×3, first 2 shown]
	v_accvgpr_read_b32 v17, a153
	v_add_f64 v[48:49], v[66:67], v[48:49]
	v_accvgpr_read_b32 v50, a106
	v_add_f64 v[12:13], v[12:13], v[16:17]
	;; [unrolled: 2-line block ×3, first 2 shown]
	v_accvgpr_read_b32 v51, a107
	v_accvgpr_read_b32 v17, a193
	v_add_f64 v[48:49], v[58:59], v[48:49]
	v_add_f64 v[58:59], v[206:207], -v[50:51]
	v_accvgpr_read_b32 v50, a102
	v_add_f64 v[12:13], v[12:13], v[16:17]
	v_accvgpr_read_b32 v16, a160
	v_accvgpr_read_b32 v51, a103
	;; [unrolled: 1-line block ×3, first 2 shown]
	v_add_f64 v[46:47], v[46:47], -v[50:51]
	v_accvgpr_read_b32 v50, a98
	v_add_f64 v[12:13], v[12:13], v[16:17]
	v_accvgpr_read_b32 v16, a138
	v_mul_f64 v[130:131], v[254:255], s[28:29]
	v_accvgpr_read_b32 v51, a99
	v_accvgpr_read_b32 v17, a139
	v_add_f64 v[60:61], v[130:131], -v[50:51]
	v_accvgpr_read_b32 v50, a94
	v_add_f64 v[12:13], v[12:13], v[16:17]
	v_accvgpr_read_b32 v16, a144
	v_mul_f64 v[132:133], v[248:249], s[24:25]
	v_accvgpr_read_b32 v51, a95
	v_accvgpr_read_b32 v17, a145
	;; [unrolled: 7-line block ×5, first 2 shown]
	v_mul_f64 v[56:57], v[224:225], s[18:19]
	v_add_f64 v[62:63], v[62:63], -v[50:51]
	v_add_f64 v[12:13], v[12:13], v[16:17]
	v_accvgpr_read_b32 v16, a156
	v_add_f64 v[56:57], v[56:57], -v[70:71]
	v_add_f64 v[62:63], v[120:121], v[62:63]
	v_accvgpr_read_b32 v17, a157
	v_accvgpr_read_b32 v197, a31
	v_add_f64 v[56:57], v[56:57], v[62:63]
	v_add_f64 v[12:13], v[12:13], v[16:17]
	v_accvgpr_read_b32 v16, a158
	v_accvgpr_read_b32 v196, a30
	v_add_f64 v[56:57], v[124:125], v[56:57]
	v_accvgpr_read_b32 v17, a159
	v_add_f64 v[56:57], v[66:67], v[56:57]
	v_add_f64 v[12:13], v[12:13], v[16:17]
	v_lshrrev_b32_e32 v16, 1, v196
	v_add_f64 v[56:57], v[64:65], v[56:57]
	v_mul_u32_u24_e32 v16, 34, v16
	v_accvgpr_read_b32 v17, a57
	v_add_f64 v[56:57], v[60:61], v[56:57]
	v_or_b32_e32 v16, v16, v17
	v_add_f64 v[46:47], v[46:47], v[56:57]
	v_lshl_add_u32 v16, v16, 4, v52
	v_add_f64 v[46:47], v[58:59], v[46:47]
	ds_write_b128 v16, v[12:15]
	ds_write_b128 v16, v[46:49] offset:32
	ds_write_b128 v16, v[42:45] offset:64
	;; [unrolled: 1-line block ×16, first 2 shown]
.LBB0_11:
	s_or_b64 exec, exec, s[22:23]
	s_waitcnt lgkmcnt(0)
	s_barrier
	ds_read_b128 v[188:191], v53
	ds_read_b128 v[184:187], v53 offset:1088
	ds_read_b128 v[20:23], v53 offset:9248
	;; [unrolled: 1-line block ×13, first 2 shown]
	v_lshlrev_b32_e32 v34, 1, v196
	s_and_saveexec_b64 s[6:7], s[4:5]
	s_cbranch_execz .LBB0_13
; %bb.12:
	ds_read_b128 v[156:159], v53 offset:7616
	ds_read_b128 v[160:163], v53 offset:15776
.LBB0_13:
	s_or_b64 exec, exec, s[6:7]
	s_movk_i32 s6, 0xffde
	s_mov_b32 s7, -1
	v_lshl_add_u64 v[28:29], v[196:197], 0, s[6:7]
	v_cndmask_b32_e64 v29, v29, 0, s[4:5]
	v_cndmask_b32_e64 v28, v28, v196, s[4:5]
	v_lshl_add_u64 v[30:31], v[28:29], 4, s[0:1]
	global_load_dwordx4 v[120:123], v[30:31], off offset:512
	s_movk_i32 s6, 0xf1
	v_cmp_lt_u16_e32 vcc, 33, v196
	s_waitcnt vmcnt(0) lgkmcnt(3)
	v_mul_f64 v[30:31], v[26:27], v[122:123]
	v_fma_f64 v[32:33], v[24:25], v[120:121], -v[30:31]
	v_mul_f64 v[30:31], v[24:25], v[122:123]
	v_mul_lo_u16_sdwa v24, v246, s6 dst_sel:DWORD dst_unused:UNUSED_PAD src0_sel:BYTE_0 src1_sel:DWORD
	v_lshrrev_b16_e32 v29, 13, v24
	v_mul_lo_u16_e32 v24, 34, v29
	v_fmac_f64_e32 v[30:31], v[26:27], v[120:121]
	v_sub_u16_e32 v35, v246, v24
	v_mov_b32_e32 v26, 4
	v_lshlrev_b32_sdwa v24, v26, v35 dst_sel:DWORD dst_unused:UNUSED_PAD src0_sel:DWORD src1_sel:BYTE_0
	global_load_dwordx4 v[124:127], v24, s[0:1] offset:512
	s_waitcnt vmcnt(0)
	v_mul_f64 v[24:25], v[22:23], v[126:127]
	v_fma_f64 v[24:25], v[20:21], v[124:125], -v[24:25]
	v_mul_f64 v[20:21], v[20:21], v[126:127]
	v_fmac_f64_e32 v[20:21], v[22:23], v[124:125]
	v_mul_lo_u16_sdwa v22, v54, s6 dst_sel:DWORD dst_unused:UNUSED_PAD src0_sel:BYTE_0 src1_sel:DWORD
	v_lshrrev_b16_e32 v50, 13, v22
	v_mul_lo_u16_e32 v22, 34, v50
	v_sub_u16_e32 v51, v54, v22
	v_lshlrev_b32_sdwa v22, v26, v51 dst_sel:DWORD dst_unused:UNUSED_PAD src0_sel:DWORD src1_sel:BYTE_0
	global_load_dwordx4 v[136:139], v22, s[0:1] offset:512
	s_mov_b32 s6, 0xf0f1
	v_mul_u32_u24_sdwa v27, v194, s6 dst_sel:DWORD dst_unused:UNUSED_PAD src0_sel:WORD_0 src1_sel:DWORD
	v_lshrrev_b32_e32 v55, 21, v27
	v_mul_u32_u24_sdwa v26, v192, s6 dst_sel:DWORD dst_unused:UNUSED_PAD src0_sel:WORD_0 src1_sel:DWORD
	v_lshrrev_b32_e32 v67, 21, v26
	s_waitcnt vmcnt(0)
	v_mul_f64 v[22:23], v[18:19], v[138:139]
	v_fma_f64 v[22:23], v[16:17], v[136:137], -v[22:23]
	v_mul_f64 v[16:17], v[16:17], v[138:139]
	v_fmac_f64_e32 v[16:17], v[18:19], v[136:137]
	v_mul_lo_u16_e32 v18, 34, v55
	v_sub_u16_e32 v66, v194, v18
	v_lshlrev_b32_e32 v18, 4, v66
	global_load_dwordx4 v[36:39], v18, s[0:1] offset:512
	s_waitcnt vmcnt(0)
	v_mul_f64 v[18:19], v[14:15], v[38:39]
	v_fma_f64 v[18:19], v[12:13], v[36:37], -v[18:19]
	v_mul_f64 v[12:13], v[12:13], v[38:39]
	v_fmac_f64_e32 v[12:13], v[14:15], v[36:37]
	v_mul_lo_u16_e32 v14, 34, v67
	v_sub_u16_e32 v68, v192, v14
	v_lshlrev_b32_e32 v14, 4, v68
	global_load_dwordx4 v[140:143], v14, s[0:1] offset:512
	v_accvgpr_write_b32 a93, v39
	v_accvgpr_write_b32 a92, v38
	;; [unrolled: 1-line block ×4, first 2 shown]
	v_add_f64 v[12:13], v[178:179], -v[12:13]
	s_waitcnt vmcnt(0)
	v_mul_f64 v[14:15], v[10:11], v[142:143]
	v_fma_f64 v[14:15], v[8:9], v[140:141], -v[14:15]
	v_mul_f64 v[8:9], v[8:9], v[142:143]
	v_fmac_f64_e32 v[8:9], v[10:11], v[140:141]
	v_mul_u32_u24_sdwa v10, v200, s6 dst_sel:DWORD dst_unused:UNUSED_PAD src0_sel:WORD_0 src1_sel:DWORD
	v_lshrrev_b32_e32 v69, 21, v10
	v_mul_lo_u16_e32 v10, 34, v69
	v_sub_u16_e32 v70, v200, v10
	v_lshlrev_b32_e32 v10, 4, v70
	global_load_dwordx4 v[144:147], v10, s[0:1] offset:512
	v_add_f64 v[46:47], v[174:175], -v[8:9]
	v_mov_b32_e32 v8, 0x44
	v_cndmask_b32_e32 v8, 0, v8, vcc
	v_add_u32_e32 v8, v28, v8
	v_lshl_add_u32 v8, v8, 4, v52
	v_add_f64 v[44:45], v[172:173], -v[14:15]
	v_fma_f64 v[128:129], v[172:173], 2.0, -v[44:45]
	v_fma_f64 v[130:131], v[174:175], 2.0, -v[46:47]
	v_accvgpr_write_b32 a94, v8
	s_waitcnt vmcnt(0) lgkmcnt(1)
	v_mul_f64 v[10:11], v[6:7], v[146:147]
	v_fma_f64 v[48:49], v[4:5], v[144:145], -v[10:11]
	v_mul_f64 v[56:57], v[4:5], v[146:147]
	v_mul_u32_u24_sdwa v4, v198, s6 dst_sel:DWORD dst_unused:UNUSED_PAD src0_sel:WORD_0 src1_sel:DWORD
	v_lshrrev_b32_e32 v71, 21, v4
	v_mul_lo_u16_e32 v4, 34, v71
	v_sub_u16_e32 v72, v198, v4
	v_lshlrev_b32_e32 v4, 4, v72
	global_load_dwordx4 v[148:151], v4, s[0:1] offset:512
	v_fmac_f64_e32 v[56:57], v[6:7], v[144:145]
	v_add_f64 v[10:11], v[176:177], -v[18:19]
	v_fma_f64 v[18:19], v[178:179], 2.0, -v[12:13]
	s_waitcnt vmcnt(0) lgkmcnt(0)
	v_mul_f64 v[4:5], v[2:3], v[150:151]
	v_fma_f64 v[58:59], v[0:1], v[148:149], -v[4:5]
	v_mul_f64 v[60:61], v[0:1], v[150:151]
	v_mul_u32_u24_sdwa v0, v74, s6 dst_sel:DWORD dst_unused:UNUSED_PAD src0_sel:WORD_0 src1_sel:DWORD
	v_lshrrev_b32_e32 v0, 21, v0
	v_mul_lo_u16_e32 v0, 34, v0
	v_sub_u16_e32 v73, v74, v0
	v_lshlrev_b32_e32 v0, 4, v73
	v_fmac_f64_e32 v[60:61], v[2:3], v[148:149]
	global_load_dwordx4 v[2:5], v0, s[0:1] offset:512
	s_barrier
	s_movk_i32 s6, 0x44
	v_add_f64 v[172:173], v[164:165], -v[58:59]
	v_add_f64 v[174:175], v[166:167], -v[60:61]
	v_fma_f64 v[164:165], v[164:165], 2.0, -v[172:173]
	v_fma_f64 v[166:167], v[166:167], 2.0, -v[174:175]
	s_waitcnt vmcnt(0)
	v_mul_f64 v[0:1], v[162:163], v[4:5]
	v_mul_f64 v[64:65], v[160:161], v[4:5]
	v_accvgpr_write_b32 a119, v5
	v_fma_f64 v[62:63], v[160:161], v[2:3], -v[0:1]
	v_accvgpr_write_b32 a118, v4
	v_accvgpr_write_b32 a117, v3
	;; [unrolled: 1-line block ×3, first 2 shown]
	v_fmac_f64_e32 v[64:65], v[162:163], v[2:3]
	v_add_f64 v[0:1], v[188:189], -v[32:33]
	v_add_f64 v[2:3], v[190:191], -v[30:31]
	v_fma_f64 v[4:5], v[188:189], 2.0, -v[0:1]
	ds_write_b128 v8, v[0:3] offset:544
	v_mul_u32_u24_e32 v0, 0x44, v29
	v_add_f64 v[30:31], v[184:185], -v[24:25]
	v_add_f64 v[32:33], v[186:187], -v[20:21]
	v_add_u32_sdwa v0, v0, v35 dst_sel:DWORD dst_unused:UNUSED_PAD src0_sel:DWORD src1_sel:BYTE_0
	v_fma_f64 v[6:7], v[190:191], 2.0, -v[2:3]
	v_fma_f64 v[36:37], v[184:185], 2.0, -v[30:31]
	;; [unrolled: 1-line block ×3, first 2 shown]
	v_lshl_add_u32 v0, v0, 4, v52
	ds_write_b128 v8, v[4:7]
	ds_write_b128 v0, v[36:39]
	v_accvgpr_write_b32 a95, v0
	ds_write_b128 v0, v[30:33] offset:544
	v_mul_u32_u24_e32 v0, 0x44, v50
	v_add_f64 v[20:21], v[180:181], -v[22:23]
	v_add_f64 v[22:23], v[182:183], -v[16:17]
	v_add_u32_sdwa v0, v0, v51 dst_sel:DWORD dst_unused:UNUSED_PAD src0_sel:DWORD src1_sel:BYTE_0
	v_fma_f64 v[40:41], v[180:181], 2.0, -v[20:21]
	v_fma_f64 v[42:43], v[182:183], 2.0, -v[22:23]
	v_lshl_add_u32 v0, v0, 4, v52
	ds_write_b128 v0, v[40:43]
	v_accvgpr_write_b32 a96, v0
	ds_write_b128 v0, v[20:23] offset:544
	v_mad_legacy_u16 v0, v55, s6, v66
	v_fma_f64 v[16:17], v[176:177], 2.0, -v[10:11]
	v_lshl_add_u32 v0, v0, 4, v52
	ds_write_b128 v0, v[16:19]
	v_accvgpr_write_b32 a97, v0
	ds_write_b128 v0, v[10:13] offset:544
	v_mad_legacy_u16 v0, v67, s6, v68
	v_lshl_add_u32 v0, v0, 4, v52
	v_add_f64 v[160:161], v[168:169], -v[48:49]
	v_add_f64 v[162:163], v[170:171], -v[56:57]
	ds_write_b128 v0, v[128:131]
	v_accvgpr_write_b32 a98, v0
	ds_write_b128 v0, v[44:47] offset:544
	v_mad_legacy_u16 v0, v69, s6, v70
	v_fma_f64 v[168:169], v[168:169], 2.0, -v[160:161]
	v_fma_f64 v[170:171], v[170:171], 2.0, -v[162:163]
	v_lshl_add_u32 v0, v0, 4, v52
	ds_write_b128 v0, v[168:171]
	v_accvgpr_write_b32 a99, v0
	ds_write_b128 v0, v[160:163] offset:544
	v_mad_legacy_u16 v0, v71, s6, v72
	v_lshl_add_u32 v0, v0, 4, v52
	ds_write_b128 v0, v[164:167]
	v_accvgpr_write_b32 a100, v0
	ds_write_b128 v0, v[172:175] offset:544
	v_lshl_add_u32 v0, v73, 4, v52
	v_add_f64 v[236:237], v[156:157], -v[62:63]
	v_add_f64 v[238:239], v[158:159], -v[64:65]
	v_accvgpr_write_b32 a31, v0
	s_and_saveexec_b64 s[6:7], s[4:5]
	s_cbranch_execz .LBB0_15
; %bb.14:
	v_fma_f64 v[2:3], v[158:159], 2.0, -v[238:239]
	v_fma_f64 v[0:1], v[156:157], 2.0, -v[236:237]
	v_accvgpr_read_b32 v4, a31
	ds_write_b128 v4, v[0:3] offset:15232
	ds_write_b128 v4, v[236:239] offset:15776
.LBB0_15:
	s_or_b64 exec, exec, s[6:7]
	v_lshlrev_b32_e32 v0, 4, v34
	s_waitcnt lgkmcnt(0)
	s_barrier
	global_load_dwordx4 v[160:163], v0, s[0:1] offset:1056
	global_load_dwordx4 v[156:159], v0, s[0:1] offset:1072
	v_lshlrev_b32_e32 v0, 4, v196
	v_mov_b32_e32 v1, 0
	v_lshrrev_b32_e32 v2, 22, v27
	v_lshl_add_u64 v[28:29], s[16:17], 0, v[0:1]
	v_mul_lo_u16_e32 v0, 0x44, v2
	v_sub_u16_e32 v50, v194, v0
	v_lshrrev_b32_e32 v4, 22, v26
	v_lshlrev_b16_e32 v0, 5, v50
	s_movk_i32 s6, 0x79
	v_lshl_add_u64 v[2:3], s[0:1], 0, v[0:1]
	v_mul_lo_u16_e32 v0, 0x44, v4
	v_mul_lo_u16_sdwa v5, v54, s6 dst_sel:DWORD dst_unused:UNUSED_PAD src0_sel:BYTE_0 src1_sel:DWORD
	v_sub_u16_e32 v51, v192, v0
	global_load_dwordx4 v[164:167], v[2:3], off offset:1072
	global_load_dwordx4 v[168:171], v[2:3], off offset:1056
	v_lshrrev_b16_e32 v2, 13, v5
	v_lshlrev_b16_e32 v0, 5, v51
	v_mul_lo_u16_e32 v2, 0x44, v2
	v_lshl_add_u64 v[0:1], s[0:1], 0, v[0:1]
	global_load_dwordx4 v[172:175], v[0:1], off offset:1072
	global_load_dwordx4 v[176:179], v[0:1], off offset:1056
	v_sub_u16_e32 v0, v54, v2
	v_and_b32_e32 v55, 0xff, v0
	v_lshlrev_b32_e32 v0, 5, v55
	global_load_dwordx4 v[184:187], v0, s[0:1] offset:1056
	global_load_dwordx4 v[180:183], v0, s[0:1] offset:1072
	ds_read_b128 v[16:19], v53
	ds_read_b128 v[12:15], v53 offset:1088
	ds_read_b128 v[20:23], v53 offset:10880
	;; [unrolled: 1-line block ×14, first 2 shown]
	v_mov_b32_e32 v74, v196
	s_mov_b32 s6, 0xe8584caa
	s_mov_b32 s7, 0x3febb67a
	;; [unrolled: 1-line block ×4, first 2 shown]
	s_waitcnt lgkmcnt(0)
	s_barrier
	s_mov_b32 s17, 0xbfee6f0e
	s_mov_b32 s19, 0xbfe2cf23
	s_waitcnt vmcnt(7)
	v_mul_f64 v[56:57], v[48:49], v[162:163]
	s_waitcnt vmcnt(6)
	v_mul_f64 v[62:63], v[20:21], v[158:159]
	v_mul_f64 v[58:59], v[46:47], v[162:163]
	;; [unrolled: 1-line block ×3, first 2 shown]
	v_fmac_f64_e32 v[62:63], v[22:23], v[156:157]
	v_mul_f64 v[64:65], v[32:33], v[162:163]
	v_mul_f64 v[196:197], v[26:27], v[158:159]
	;; [unrolled: 1-line block ×3, first 2 shown]
	v_fma_f64 v[46:47], v[46:47], v[160:161], -v[56:57]
	v_fmac_f64_e32 v[58:59], v[48:49], v[160:161]
	v_fma_f64 v[48:49], v[20:21], v[156:157], -v[60:61]
	v_fma_f64 v[56:57], v[30:31], v[160:161], -v[64:65]
	;; [unrolled: 1-line block ×3, first 2 shown]
	v_fmac_f64_e32 v[198:199], v[26:27], v[156:157]
	s_waitcnt vmcnt(5)
	v_mul_f64 v[24:25], v[44:45], v[166:167]
	s_waitcnt vmcnt(4)
	v_mul_f64 v[22:23], v[130:131], v[170:171]
	v_fma_f64 v[200:201], v[128:129], v[168:169], -v[22:23]
	v_mul_f64 v[64:65], v[128:129], v[170:171]
	v_mul_f64 v[66:67], v[30:31], v[162:163]
	v_add_f64 v[20:21], v[16:17], v[46:47]
	s_waitcnt vmcnt(2)
	v_mul_f64 v[22:23], v[190:191], v[178:179]
	v_fma_f64 v[206:207], v[188:189], v[176:177], -v[22:23]
	v_add_f64 v[22:23], v[46:47], v[48:49]
	s_waitcnt vmcnt(1)
	v_mul_f64 v[26:27], v[36:37], v[186:187]
	v_mul_f64 v[196:197], v[42:43], v[166:167]
	v_fmac_f64_e32 v[64:65], v[130:131], v[168:169]
	v_fma_f64 v[130:131], v[42:43], v[164:165], -v[24:25]
	v_mul_f64 v[202:203], v[188:189], v[178:179]
	v_mul_f64 v[24:25], v[194:195], v[174:175]
	s_waitcnt vmcnt(0)
	v_mul_f64 v[30:31], v[40:41], v[182:183]
	v_fma_f64 v[188:189], v[34:35], v[184:185], -v[26:27]
	v_fmac_f64_e32 v[16:17], -0.5, v[22:23]
	v_add_f64 v[22:23], v[58:59], -v[62:63]
	v_add_f64 v[26:27], v[58:59], v[62:63]
	v_fmac_f64_e32 v[66:67], v[32:33], v[160:161]
	v_fmac_f64_e32 v[196:197], v[44:45], v[164:165]
	v_mul_f64 v[44:45], v[34:35], v[186:187]
	v_fmac_f64_e32 v[202:203], v[190:191], v[176:177]
	v_fma_f64 v[208:209], v[192:193], v[172:173], -v[24:25]
	v_fma_f64 v[190:191], v[38:39], v[180:181], -v[30:31]
	v_fma_f64 v[24:25], s[6:7], v[22:23], v[16:17]
	v_fmac_f64_e32 v[16:17], s[14:15], v[22:23]
	v_add_f64 v[22:23], v[18:19], v[58:59]
	v_fmac_f64_e32 v[18:19], -0.5, v[26:27]
	v_add_f64 v[30:31], v[46:47], -v[48:49]
	v_add_f64 v[32:33], v[56:57], v[60:61]
	v_mul_f64 v[128:129], v[38:39], v[182:183]
	v_fmac_f64_e32 v[44:45], v[36:37], v[184:185]
	v_fma_f64 v[26:27], s[14:15], v[30:31], v[18:19]
	v_fmac_f64_e32 v[18:19], s[6:7], v[30:31]
	v_add_f64 v[30:31], v[12:13], v[56:57]
	v_fmac_f64_e32 v[12:13], -0.5, v[32:33]
	v_add_f64 v[32:33], v[66:67], -v[198:199]
	v_add_f64 v[36:37], v[66:67], v[198:199]
	v_fmac_f64_e32 v[128:129], v[40:41], v[180:181]
	v_fma_f64 v[34:35], s[6:7], v[32:33], v[12:13]
	v_fmac_f64_e32 v[12:13], s[14:15], v[32:33]
	v_add_f64 v[32:33], v[14:15], v[66:67]
	v_fmac_f64_e32 v[14:15], -0.5, v[36:37]
	v_add_f64 v[38:39], v[56:57], -v[60:61]
	v_add_f64 v[40:41], v[188:189], v[190:191]
	v_fma_f64 v[36:37], s[14:15], v[38:39], v[14:15]
	v_fmac_f64_e32 v[14:15], s[6:7], v[38:39]
	v_add_f64 v[38:39], v[8:9], v[188:189]
	v_fmac_f64_e32 v[8:9], -0.5, v[40:41]
	v_add_f64 v[40:41], v[44:45], -v[128:129]
	v_fma_f64 v[42:43], s[6:7], v[40:41], v[8:9]
	v_fmac_f64_e32 v[8:9], s[14:15], v[40:41]
	v_add_f64 v[40:41], v[10:11], v[44:45]
	v_add_f64 v[44:45], v[44:45], v[128:129]
	;; [unrolled: 1-line block ×3, first 2 shown]
	v_fmac_f64_e32 v[10:11], -0.5, v[44:45]
	v_add_f64 v[46:47], v[188:189], -v[190:191]
	v_add_f64 v[48:49], v[200:201], v[130:131]
	v_fma_f64 v[44:45], s[14:15], v[46:47], v[10:11]
	v_fmac_f64_e32 v[10:11], s[6:7], v[46:47]
	v_add_f64 v[46:47], v[4:5], v[200:201]
	v_fmac_f64_e32 v[4:5], -0.5, v[48:49]
	v_add_f64 v[48:49], v[64:65], -v[196:197]
	v_add_f64 v[56:57], v[64:65], v[196:197]
	v_add_f64 v[40:41], v[40:41], v[128:129]
	v_fma_f64 v[128:129], s[6:7], v[48:49], v[4:5]
	v_fmac_f64_e32 v[4:5], s[14:15], v[48:49]
	v_add_f64 v[48:49], v[6:7], v[64:65]
	v_fmac_f64_e32 v[6:7], -0.5, v[56:57]
	v_add_f64 v[56:57], v[200:201], -v[130:131]
	v_mul_f64 v[204:205], v[192:193], v[174:175]
	v_add_f64 v[46:47], v[46:47], v[130:131]
	v_fma_f64 v[130:131], s[14:15], v[56:57], v[6:7]
	v_fmac_f64_e32 v[6:7], s[6:7], v[56:57]
	v_add_f64 v[56:57], v[0:1], v[206:207]
	v_fmac_f64_e32 v[204:205], v[194:195], v[172:173]
	v_add_f64 v[188:189], v[56:57], v[208:209]
	v_add_f64 v[56:57], v[206:207], v[208:209]
	v_fmac_f64_e32 v[0:1], -0.5, v[56:57]
	v_add_f64 v[56:57], v[202:203], -v[204:205]
	v_add_f64 v[22:23], v[22:23], v[62:63]
	v_fma_f64 v[192:193], s[6:7], v[56:57], v[0:1]
	v_fmac_f64_e32 v[0:1], s[14:15], v[56:57]
	v_add_f64 v[56:57], v[2:3], v[202:203]
	v_add_f64 v[30:31], v[30:31], v[60:61]
	;; [unrolled: 1-line block ×6, first 2 shown]
	ds_write_b128 v53, v[20:23]
	ds_write_b128 v53, v[24:27] offset:1088
	ds_write_b128 v53, v[16:19] offset:2176
	;; [unrolled: 1-line block ×5, first 2 shown]
	v_lshl_add_u32 v12, v55, 4, v52
	v_add_f64 v[48:49], v[48:49], v[196:197]
	v_fmac_f64_e32 v[2:3], -0.5, v[56:57]
	v_add_f64 v[56:57], v[206:207], -v[208:209]
	ds_write_b128 v12, v[38:41] offset:6528
	ds_write_b128 v12, v[42:45] offset:7616
	;; [unrolled: 1-line block ×3, first 2 shown]
	v_lshl_add_u32 v8, v50, 4, v52
	v_fma_f64 v[194:195], s[14:15], v[56:57], v[2:3]
	v_fmac_f64_e32 v[2:3], s[6:7], v[56:57]
	ds_write_b128 v8, v[46:49] offset:9792
	ds_write_b128 v8, v[128:131] offset:10880
	;; [unrolled: 1-line block ×3, first 2 shown]
	v_lshl_add_u32 v4, v51, 4, v52
	ds_write_b128 v4, v[188:191] offset:13056
	ds_write_b128 v4, v[192:195] offset:14144
	;; [unrolled: 1-line block ×3, first 2 shown]
	v_lshlrev_b32_e32 v0, 6, v74
	s_waitcnt lgkmcnt(0)
	s_barrier
	global_load_dwordx4 v[200:203], v0, s[0:1] offset:3232
	global_load_dwordx4 v[196:199], v0, s[0:1] offset:3248
	;; [unrolled: 1-line block ×4, first 2 shown]
	v_lshlrev_b32_e32 v0, 6, v246
	global_load_dwordx4 v[216:219], v0, s[0:1] offset:3232
	global_load_dwordx4 v[212:215], v0, s[0:1] offset:3248
	;; [unrolled: 1-line block ×4, first 2 shown]
	v_lshlrev_b32_e32 v0, 6, v54
	global_load_dwordx4 v[232:235], v0, s[0:1] offset:3232
	global_load_dwordx4 v[228:231], v0, s[0:1] offset:3248
	;; [unrolled: 1-line block ×4, first 2 shown]
	v_accvgpr_write_b32 a101, v12
	v_accvgpr_write_b32 a102, v8
	;; [unrolled: 1-line block ×3, first 2 shown]
	ds_read_b128 v[4:7], v53
	ds_read_b128 v[0:3], v53 offset:1088
	ds_read_b128 v[8:11], v53 offset:6528
	;; [unrolled: 1-line block ×14, first 2 shown]
	s_mov_b32 s6, 0x134454ff
	s_mov_b32 s7, 0x3fee6f0e
	;; [unrolled: 1-line block ×8, first 2 shown]
	s_waitcnt vmcnt(11) lgkmcnt(8)
	v_mul_f64 v[34:35], v[26:27], v[202:203]
	v_fma_f64 v[48:49], v[24:25], v[200:201], -v[34:35]
	v_mul_f64 v[54:55], v[24:25], v[202:203]
	s_waitcnt vmcnt(10)
	v_mul_f64 v[24:25], v[10:11], v[198:199]
	v_fma_f64 v[56:57], v[8:9], v[196:197], -v[24:25]
	v_mul_f64 v[58:59], v[8:9], v[198:199]
	s_waitcnt vmcnt(9) lgkmcnt(4)
	v_mul_f64 v[8:9], v[42:43], v[194:195]
	v_fma_f64 v[60:61], v[40:41], v[192:193], -v[8:9]
	v_mul_f64 v[62:63], v[40:41], v[194:195]
	s_waitcnt vmcnt(8)
	v_mul_f64 v[8:9], v[18:19], v[190:191]
	v_fmac_f64_e32 v[62:63], v[42:43], v[192:193]
	v_fma_f64 v[42:43], v[16:17], v[188:189], -v[8:9]
	s_waitcnt vmcnt(7)
	v_mul_f64 v[8:9], v[32:33], v[218:219]
	v_fma_f64 v[66:67], v[30:31], v[216:217], -v[8:9]
	s_waitcnt vmcnt(6)
	v_mul_f64 v[8:9], v[14:15], v[214:215]
	v_fma_f64 v[254:255], v[12:13], v[212:213], -v[8:9]
	s_waitcnt vmcnt(5) lgkmcnt(2)
	v_mul_f64 v[8:9], v[130:131], v[210:211]
	v_fma_f64 v[68:69], v[128:129], v[208:209], -v[8:9]
	v_mul_f64 v[70:71], v[128:129], v[210:211]
	s_waitcnt vmcnt(4)
	v_mul_f64 v[8:9], v[22:23], v[206:207]
	v_fmac_f64_e32 v[70:71], v[130:131], v[208:209]
	v_fma_f64 v[130:131], v[20:21], v[204:205], -v[8:9]
	s_waitcnt vmcnt(3)
	v_mul_f64 v[8:9], v[38:39], v[234:235]
	v_fma_f64 v[34:35], v[36:37], v[232:233], -v[8:9]
	s_waitcnt vmcnt(2)
	v_mul_f64 v[8:9], v[46:47], v[230:231]
	v_mul_f64 v[24:25], v[36:37], v[234:235]
	v_fma_f64 v[36:37], v[44:45], v[228:229], -v[8:9]
	s_waitcnt vmcnt(1) lgkmcnt(1)
	v_mul_f64 v[8:9], v[246:247], v[226:227]
	v_fmac_f64_e32 v[24:25], v[38:39], v[232:233]
	v_fma_f64 v[38:39], v[244:245], v[224:225], -v[8:9]
	s_waitcnt vmcnt(0) lgkmcnt(0)
	v_mul_f64 v[8:9], v[250:251], v[222:223]
	v_fma_f64 v[40:41], v[248:249], v[220:221], -v[8:9]
	v_add_f64 v[8:9], v[4:5], v[48:49]
	v_add_f64 v[8:9], v[8:9], v[56:57]
	v_mul_f64 v[64:65], v[16:17], v[190:191]
	v_add_f64 v[8:9], v[8:9], v[60:61]
	v_fmac_f64_e32 v[54:55], v[26:27], v[200:201]
	v_fmac_f64_e32 v[64:65], v[18:19], v[188:189]
	v_mul_f64 v[50:51], v[12:13], v[214:215]
	v_add_f64 v[12:13], v[8:9], v[42:43]
	v_add_f64 v[8:9], v[56:57], v[60:61]
	v_fmac_f64_e32 v[58:59], v[10:11], v[196:197]
	v_fma_f64 v[8:9], -0.5, v[8:9], v[4:5]
	v_add_f64 v[10:11], v[54:55], -v[64:65]
	v_fmac_f64_e32 v[50:51], v[14:15], v[212:213]
	v_mul_f64 v[72:73], v[20:21], v[206:207]
	v_fma_f64 v[16:17], s[6:7], v[10:11], v[8:9]
	v_add_f64 v[14:15], v[58:59], -v[62:63]
	v_add_f64 v[18:19], v[48:49], -v[56:57]
	;; [unrolled: 1-line block ×3, first 2 shown]
	v_fmac_f64_e32 v[8:9], s[16:17], v[10:11]
	v_fmac_f64_e32 v[16:17], s[0:1], v[14:15]
	v_add_f64 v[18:19], v[18:19], v[20:21]
	v_fmac_f64_e32 v[8:9], s[18:19], v[14:15]
	v_fmac_f64_e32 v[16:17], s[14:15], v[18:19]
	;; [unrolled: 1-line block ×3, first 2 shown]
	v_add_f64 v[18:19], v[48:49], v[42:43]
	v_fmac_f64_e32 v[4:5], -0.5, v[18:19]
	v_fma_f64 v[20:21], s[16:17], v[14:15], v[4:5]
	v_fmac_f64_e32 v[4:5], s[6:7], v[14:15]
	v_fmac_f64_e32 v[20:21], s[0:1], v[10:11]
	;; [unrolled: 1-line block ×3, first 2 shown]
	v_add_f64 v[10:11], v[6:7], v[54:55]
	v_add_f64 v[10:11], v[10:11], v[58:59]
	;; [unrolled: 1-line block ×3, first 2 shown]
	v_fmac_f64_e32 v[72:73], v[22:23], v[204:205]
	v_add_f64 v[18:19], v[56:57], -v[48:49]
	v_add_f64 v[22:23], v[60:61], -v[42:43]
	v_add_f64 v[14:15], v[10:11], v[64:65]
	v_add_f64 v[10:11], v[58:59], v[62:63]
	v_mul_f64 v[26:27], v[44:45], v[230:231]
	v_add_f64 v[18:19], v[18:19], v[22:23]
	v_fma_f64 v[10:11], -0.5, v[10:11], v[6:7]
	v_add_f64 v[42:43], v[48:49], -v[42:43]
	v_fmac_f64_e32 v[26:27], v[46:47], v[228:229]
	v_fmac_f64_e32 v[20:21], s[14:15], v[18:19]
	;; [unrolled: 1-line block ×3, first 2 shown]
	v_fma_f64 v[18:19], s[16:17], v[42:43], v[10:11]
	v_add_f64 v[44:45], v[56:57], -v[60:61]
	v_add_f64 v[22:23], v[54:55], -v[58:59]
	;; [unrolled: 1-line block ×3, first 2 shown]
	v_fmac_f64_e32 v[10:11], s[6:7], v[42:43]
	v_fmac_f64_e32 v[18:19], s[18:19], v[44:45]
	v_add_f64 v[22:23], v[22:23], v[46:47]
	v_fmac_f64_e32 v[10:11], s[0:1], v[44:45]
	v_fmac_f64_e32 v[18:19], s[14:15], v[22:23]
	;; [unrolled: 1-line block ×3, first 2 shown]
	v_add_f64 v[22:23], v[54:55], v[64:65]
	v_fmac_f64_e32 v[6:7], -0.5, v[22:23]
	v_mul_f64 v[252:253], v[30:31], v[218:219]
	v_fma_f64 v[22:23], s[6:7], v[44:45], v[6:7]
	v_add_f64 v[46:47], v[58:59], -v[54:55]
	v_add_f64 v[48:49], v[62:63], -v[64:65]
	v_fmac_f64_e32 v[6:7], s[16:17], v[44:45]
	v_fmac_f64_e32 v[252:253], v[32:33], v[216:217]
	;; [unrolled: 1-line block ×3, first 2 shown]
	v_add_f64 v[46:47], v[46:47], v[48:49]
	v_fmac_f64_e32 v[6:7], s[0:1], v[42:43]
	v_add_f64 v[44:45], v[254:255], v[68:69]
	v_fmac_f64_e32 v[22:23], s[14:15], v[46:47]
	v_fmac_f64_e32 v[6:7], s[14:15], v[46:47]
	v_fma_f64 v[46:47], -0.5, v[44:45], v[0:1]
	v_add_f64 v[44:45], v[252:253], -v[72:73]
	v_fma_f64 v[128:129], s[6:7], v[44:45], v[46:47]
	v_add_f64 v[48:49], v[50:51], -v[70:71]
	v_add_f64 v[54:55], v[66:67], -v[254:255]
	;; [unrolled: 1-line block ×3, first 2 shown]
	v_fmac_f64_e32 v[46:47], s[16:17], v[44:45]
	v_fmac_f64_e32 v[128:129], s[0:1], v[48:49]
	v_add_f64 v[54:55], v[54:55], v[56:57]
	v_fmac_f64_e32 v[46:47], s[18:19], v[48:49]
	v_fmac_f64_e32 v[128:129], s[14:15], v[54:55]
	;; [unrolled: 1-line block ×3, first 2 shown]
	v_add_f64 v[54:55], v[66:67], v[130:131]
	v_add_f64 v[42:43], v[0:1], v[66:67]
	v_fmac_f64_e32 v[0:1], -0.5, v[54:55]
	v_mul_f64 v[32:33], v[248:249], v[222:223]
	v_fma_f64 v[248:249], s[16:17], v[48:49], v[0:1]
	v_add_f64 v[54:55], v[254:255], -v[66:67]
	v_add_f64 v[56:57], v[68:69], -v[130:131]
	v_fmac_f64_e32 v[0:1], s[6:7], v[48:49]
	v_add_f64 v[42:43], v[42:43], v[254:255]
	v_fmac_f64_e32 v[248:249], s[0:1], v[44:45]
	v_add_f64 v[54:55], v[54:55], v[56:57]
	;; [unrolled: 2-line block ×3, first 2 shown]
	v_add_f64 v[42:43], v[42:43], v[68:69]
	v_fmac_f64_e32 v[248:249], s[14:15], v[54:55]
	v_fmac_f64_e32 v[0:1], s[14:15], v[54:55]
	v_fma_f64 v[48:49], -0.5, v[48:49], v[2:3]
	v_add_f64 v[54:55], v[66:67], -v[130:131]
	v_add_f64 v[42:43], v[42:43], v[130:131]
	v_fma_f64 v[130:131], s[16:17], v[54:55], v[48:49]
	v_add_f64 v[56:57], v[254:255], -v[68:69]
	v_add_f64 v[58:59], v[252:253], -v[50:51]
	;; [unrolled: 1-line block ×3, first 2 shown]
	v_fmac_f64_e32 v[48:49], s[6:7], v[54:55]
	v_fmac_f64_e32 v[130:131], s[18:19], v[56:57]
	v_add_f64 v[58:59], v[58:59], v[60:61]
	v_fmac_f64_e32 v[48:49], s[0:1], v[56:57]
	v_fmac_f64_e32 v[130:131], s[14:15], v[58:59]
	;; [unrolled: 1-line block ×3, first 2 shown]
	v_add_f64 v[58:59], v[252:253], v[72:73]
	v_add_f64 v[44:45], v[2:3], v[252:253]
	v_fmac_f64_e32 v[2:3], -0.5, v[58:59]
	v_fmac_f64_e32 v[32:33], v[250:251], v[220:221]
	v_add_f64 v[44:45], v[44:45], v[50:51]
	v_fma_f64 v[250:251], s[6:7], v[56:57], v[2:3]
	v_add_f64 v[50:51], v[50:51], -v[252:253]
	v_add_f64 v[58:59], v[70:71], -v[72:73]
	v_fmac_f64_e32 v[2:3], s[16:17], v[56:57]
	v_fmac_f64_e32 v[250:251], s[18:19], v[54:55]
	v_add_f64 v[50:51], v[50:51], v[58:59]
	v_fmac_f64_e32 v[2:3], s[0:1], v[54:55]
	v_fmac_f64_e32 v[250:251], s[14:15], v[50:51]
	;; [unrolled: 1-line block ×3, first 2 shown]
	v_add_f64 v[50:51], v[240:241], v[34:35]
	v_add_f64 v[50:51], v[50:51], v[36:37]
	;; [unrolled: 1-line block ×3, first 2 shown]
	v_mul_f64 v[30:31], v[244:245], v[226:227]
	v_add_f64 v[252:253], v[50:51], v[40:41]
	v_add_f64 v[50:51], v[36:37], v[38:39]
	v_fmac_f64_e32 v[30:31], v[246:247], v[224:225]
	v_fma_f64 v[244:245], -0.5, v[50:51], v[240:241]
	v_add_f64 v[50:51], v[24:25], -v[32:33]
	v_fma_f64 v[54:55], s[6:7], v[50:51], v[244:245]
	v_add_f64 v[56:57], v[26:27], -v[30:31]
	v_add_f64 v[58:59], v[34:35], -v[36:37]
	;; [unrolled: 1-line block ×3, first 2 shown]
	v_fmac_f64_e32 v[244:245], s[16:17], v[50:51]
	v_fmac_f64_e32 v[54:55], s[0:1], v[56:57]
	v_add_f64 v[58:59], v[58:59], v[60:61]
	v_fmac_f64_e32 v[244:245], s[18:19], v[56:57]
	v_fmac_f64_e32 v[54:55], s[14:15], v[58:59]
	;; [unrolled: 1-line block ×3, first 2 shown]
	v_add_f64 v[58:59], v[34:35], v[40:41]
	v_fmac_f64_e32 v[240:241], -0.5, v[58:59]
	v_fma_f64 v[58:59], s[16:17], v[56:57], v[240:241]
	v_fmac_f64_e32 v[240:241], s[6:7], v[56:57]
	v_fmac_f64_e32 v[58:59], s[0:1], v[50:51]
	;; [unrolled: 1-line block ×3, first 2 shown]
	v_add_f64 v[50:51], v[242:243], v[24:25]
	v_add_f64 v[50:51], v[50:51], v[26:27]
	v_add_f64 v[50:51], v[50:51], v[30:31]
	v_add_f64 v[254:255], v[50:51], v[32:33]
	v_add_f64 v[50:51], v[26:27], v[30:31]
	v_add_f64 v[60:61], v[36:37], -v[34:35]
	v_fma_f64 v[246:247], -0.5, v[50:51], v[242:243]
	v_add_f64 v[34:35], v[34:35], -v[40:41]
	v_add_f64 v[62:63], v[38:39], -v[40:41]
	v_fma_f64 v[56:57], s[16:17], v[34:35], v[246:247]
	v_add_f64 v[36:37], v[36:37], -v[38:39]
	v_add_f64 v[38:39], v[24:25], -v[26:27]
	;; [unrolled: 1-line block ×3, first 2 shown]
	v_fmac_f64_e32 v[246:247], s[6:7], v[34:35]
	v_fmac_f64_e32 v[56:57], s[18:19], v[36:37]
	v_add_f64 v[38:39], v[38:39], v[40:41]
	v_fmac_f64_e32 v[246:247], s[0:1], v[36:37]
	v_fmac_f64_e32 v[56:57], s[14:15], v[38:39]
	;; [unrolled: 1-line block ×3, first 2 shown]
	v_add_f64 v[38:39], v[24:25], v[32:33]
	v_add_f64 v[60:61], v[60:61], v[62:63]
	v_fmac_f64_e32 v[242:243], -0.5, v[38:39]
	v_fmac_f64_e32 v[58:59], s[14:15], v[60:61]
	v_fmac_f64_e32 v[240:241], s[14:15], v[60:61]
	v_fma_f64 v[60:61], s[6:7], v[36:37], v[242:243]
	v_add_f64 v[24:25], v[26:27], -v[24:25]
	v_add_f64 v[26:27], v[30:31], -v[32:33]
	v_fmac_f64_e32 v[242:243], s[16:17], v[36:37]
	v_add_f64 v[44:45], v[44:45], v[70:71]
	v_fmac_f64_e32 v[60:61], s[18:19], v[34:35]
	v_add_f64 v[24:25], v[24:25], v[26:27]
	v_fmac_f64_e32 v[242:243], s[0:1], v[34:35]
	ds_write_b128 v53, v[12:15]
	ds_write_b128 v53, v[16:19] offset:3264
	ds_write_b128 v53, v[20:23] offset:6528
	v_lshl_add_u32 v12, v74, 4, v52
	s_movk_i32 s6, 0x3000
	v_add_f64 v[44:45], v[44:45], v[72:73]
	v_fmac_f64_e32 v[60:61], s[14:15], v[24:25]
	v_fmac_f64_e32 v[242:243], s[14:15], v[24:25]
	ds_write_b128 v12, v[4:7] offset:9792
	ds_write_b128 v12, v[8:11] offset:13056
	;; [unrolled: 1-line block ×12, first 2 shown]
	v_add_co_u32_e32 v0, vcc, s6, v28
	s_movk_i32 s0, 0x5000
	s_nop 0
	v_addc_co_u32_e32 v1, vcc, 0, v29, vcc
	v_add_co_u32_e32 v32, vcc, s0, v28
	s_waitcnt lgkmcnt(0)
	s_barrier
	global_load_dwordx4 v[0:3], v[0:1], off offset:4032
	v_addc_co_u32_e32 v33, vcc, 0, v29, vcc
	global_load_dwordx4 v[4:7], v[32:33], off offset:4000
	s_mov_b64 s[0:1], 0x3fc0
	v_lshl_add_u64 v[30:31], v[28:29], 0, s[0:1]
	global_load_dwordx4 v[8:11], v[30:31], off offset:1088
	s_movk_i32 s0, 0x6000
	v_add_co_u32_e32 v34, vcc, s0, v28
	v_accvgpr_write_b32 a104, v12
	s_nop 0
	v_addc_co_u32_e32 v35, vcc, 0, v29, vcc
	global_load_dwordx4 v[12:15], v[34:35], off offset:992
	global_load_dwordx4 v[16:19], v[30:31], off offset:2176
	;; [unrolled: 1-line block ×4, first 2 shown]
	s_nop 0
	global_load_dwordx4 v[34:37], v[34:35], off offset:3168
	s_nop 0
	global_load_dwordx4 v[38:41], v[32:33], off offset:192
	s_movk_i32 s0, 0x7000
	v_add_co_u32_e32 v28, vcc, s0, v28
	s_nop 1
	v_addc_co_u32_e32 v29, vcc, 0, v29, vcc
	global_load_dwordx4 v[42:45], v[28:29], off offset:160
	global_load_dwordx4 v[46:49], v[32:33], off offset:1280
	;; [unrolled: 1-line block ×5, first 2 shown]
	ds_read_b128 v[128:131], v53
	ds_read_b128 v[248:251], v53 offset:1088
	ds_read_b128 v[62:65], v53 offset:8160
	s_waitcnt vmcnt(13) lgkmcnt(2)
	v_mul_f64 v[28:29], v[130:131], v[2:3]
	v_mul_f64 v[254:255], v[128:129], v[2:3]
	v_fma_f64 v[252:253], v[128:129], v[0:1], -v[28:29]
	v_fmac_f64_e32 v[254:255], v[130:131], v[0:1]
	ds_read_b128 v[0:3], v53 offset:6528
	s_waitcnt vmcnt(12) lgkmcnt(1)
	v_mul_f64 v[28:29], v[64:65], v[6:7]
	v_mul_f64 v[130:131], v[62:63], v[6:7]
	v_fma_f64 v[128:129], v[62:63], v[4:5], -v[28:29]
	v_fmac_f64_e32 v[130:131], v[64:65], v[4:5]
	ds_read_b128 v[62:65], v53 offset:9248
	ds_write_b128 v53, v[128:131] offset:8160
	s_waitcnt vmcnt(11)
	v_mul_f64 v[4:5], v[250:251], v[10:11]
	v_mul_f64 v[6:7], v[248:249], v[10:11]
	ds_read_b128 v[128:131], v53 offset:2176
	v_fma_f64 v[4:5], v[248:249], v[8:9], -v[4:5]
	v_fmac_f64_e32 v[6:7], v[250:251], v[8:9]
	ds_write_b128 v53, v[4:7] offset:1088
	ds_read_b128 v[4:7], v53 offset:10336
	s_waitcnt vmcnt(10) lgkmcnt(4)
	v_mul_f64 v[8:9], v[64:65], v[14:15]
	v_mul_f64 v[10:11], v[62:63], v[14:15]
	v_fma_f64 v[8:9], v[62:63], v[12:13], -v[8:9]
	v_fmac_f64_e32 v[10:11], v[64:65], v[12:13]
	ds_write_b128 v53, v[8:11] offset:9248
	ds_read_b128 v[8:11], v53 offset:3264
	s_waitcnt vmcnt(9) lgkmcnt(4)
	v_mul_f64 v[12:13], v[130:131], v[18:19]
	v_mul_f64 v[14:15], v[128:129], v[18:19]
	v_fma_f64 v[12:13], v[128:129], v[16:17], -v[12:13]
	v_fmac_f64_e32 v[14:15], v[130:131], v[16:17]
	ds_write_b128 v53, v[12:15] offset:2176
	s_waitcnt vmcnt(8) lgkmcnt(3)
	v_mul_f64 v[12:13], v[6:7], v[22:23]
	v_mul_f64 v[14:15], v[4:5], v[22:23]
	v_fma_f64 v[12:13], v[4:5], v[20:21], -v[12:13]
	v_fmac_f64_e32 v[14:15], v[6:7], v[20:21]
	ds_write_b128 v53, v[12:15] offset:10336
	ds_read_b128 v[12:15], v53 offset:11424
	s_waitcnt vmcnt(7) lgkmcnt(3)
	v_mul_f64 v[4:5], v[10:11], v[26:27]
	v_mul_f64 v[6:7], v[8:9], v[26:27]
	ds_read_b128 v[16:19], v53 offset:4352
	v_fma_f64 v[4:5], v[8:9], v[24:25], -v[4:5]
	v_fmac_f64_e32 v[6:7], v[10:11], v[24:25]
	ds_write_b128 v53, v[4:7] offset:3264
	ds_read_b128 v[4:7], v53 offset:12512
	s_waitcnt vmcnt(6) lgkmcnt(3)
	v_mul_f64 v[8:9], v[14:15], v[36:37]
	v_mul_f64 v[10:11], v[12:13], v[36:37]
	v_fma_f64 v[8:9], v[12:13], v[34:35], -v[8:9]
	v_fmac_f64_e32 v[10:11], v[14:15], v[34:35]
	ds_write_b128 v53, v[8:11] offset:11424
	ds_read_b128 v[8:11], v53 offset:5440
	s_waitcnt vmcnt(5) lgkmcnt(4)
	v_mul_f64 v[12:13], v[18:19], v[40:41]
	v_mul_f64 v[14:15], v[16:17], v[40:41]
	v_fma_f64 v[12:13], v[16:17], v[38:39], -v[12:13]
	v_fmac_f64_e32 v[14:15], v[18:19], v[38:39]
	ds_write_b128 v53, v[12:15] offset:4352
	s_waitcnt vmcnt(4) lgkmcnt(3)
	v_mul_f64 v[12:13], v[6:7], v[44:45]
	v_mul_f64 v[14:15], v[4:5], v[44:45]
	v_fma_f64 v[12:13], v[4:5], v[42:43], -v[12:13]
	v_fmac_f64_e32 v[14:15], v[6:7], v[42:43]
	ds_write_b128 v53, v[12:15] offset:12512
	ds_read_b128 v[12:15], v53 offset:13600
	s_waitcnt vmcnt(3) lgkmcnt(3)
	v_mul_f64 v[4:5], v[10:11], v[48:49]
	v_mul_f64 v[6:7], v[8:9], v[48:49]
	v_fma_f64 v[4:5], v[8:9], v[46:47], -v[4:5]
	v_fmac_f64_e32 v[6:7], v[10:11], v[46:47]
	ds_write_b128 v53, v[4:7] offset:5440
	ds_read_b128 v[4:7], v53 offset:14688
	s_waitcnt vmcnt(2) lgkmcnt(2)
	v_mul_f64 v[8:9], v[14:15], v[56:57]
	v_mul_f64 v[10:11], v[12:13], v[56:57]
	v_fma_f64 v[8:9], v[12:13], v[54:55], -v[8:9]
	v_fmac_f64_e32 v[10:11], v[14:15], v[54:55]
	ds_write_b128 v53, v[8:11] offset:13600
	s_waitcnt vmcnt(1)
	v_mul_f64 v[8:9], v[2:3], v[60:61]
	v_mul_f64 v[10:11], v[0:1], v[60:61]
	v_fma_f64 v[8:9], v[0:1], v[58:59], -v[8:9]
	v_fmac_f64_e32 v[10:11], v[2:3], v[58:59]
	s_waitcnt vmcnt(0) lgkmcnt(1)
	v_mul_f64 v[0:1], v[6:7], v[242:243]
	v_mul_f64 v[2:3], v[4:5], v[242:243]
	v_fma_f64 v[0:1], v[4:5], v[240:241], -v[0:1]
	v_fmac_f64_e32 v[2:3], v[6:7], v[240:241]
	ds_write_b128 v53, v[252:255]
	ds_write_b128 v53, v[8:11] offset:6528
	ds_write_b128 v53, v[0:3] offset:14688
	s_and_saveexec_b64 s[0:1], s[4:5]
	s_cbranch_execz .LBB0_17
; %bb.16:
	v_add_co_u32_e32 v4, vcc, 0x1000, v30
	ds_read_b128 v[0:3], v53 offset:7616
	s_nop 0
	v_addc_co_u32_e32 v5, vcc, 0, v31, vcc
	global_load_dwordx4 v[4:7], v[4:5], off offset:3520
	s_waitcnt vmcnt(0) lgkmcnt(0)
	v_mul_f64 v[8:9], v[2:3], v[6:7]
	v_mul_f64 v[10:11], v[0:1], v[6:7]
	v_fma_f64 v[8:9], v[0:1], v[4:5], -v[8:9]
	v_fmac_f64_e32 v[10:11], v[2:3], v[4:5]
	v_add_co_u32_e32 v4, vcc, s6, v30
	ds_read_b128 v[0:3], v53 offset:15776
	s_nop 0
	v_addc_co_u32_e32 v5, vcc, 0, v31, vcc
	global_load_dwordx4 v[4:7], v[4:5], off offset:3488
	ds_write_b128 v53, v[8:11] offset:7616
	s_waitcnt vmcnt(0) lgkmcnt(1)
	v_mul_f64 v[8:9], v[2:3], v[6:7]
	v_mul_f64 v[10:11], v[0:1], v[6:7]
	v_fma_f64 v[8:9], v[0:1], v[4:5], -v[8:9]
	v_fmac_f64_e32 v[10:11], v[2:3], v[4:5]
	ds_write_b128 v53, v[8:11] offset:15776
.LBB0_17:
	s_or_b64 exec, exec, s[0:1]
	s_waitcnt lgkmcnt(0)
	s_barrier
	ds_read_b128 v[240:243], v53
	ds_read_b128 v[0:3], v53 offset:1088
	ds_read_b128 v[44:47], v53 offset:9248
	;; [unrolled: 1-line block ×13, first 2 shown]
	s_and_saveexec_b64 s[0:1], s[4:5]
	s_cbranch_execz .LBB0_19
; %bb.18:
	v_accvgpr_read_b32 v48, a104
	ds_read_b128 v[244:247], v48 offset:7616
	ds_read_b128 v[236:239], v48 offset:15776
.LBB0_19:
	s_or_b64 exec, exec, s[0:1]
	s_waitcnt lgkmcnt(3)
	v_add_f64 v[248:249], v[240:241], -v[248:249]
	v_add_f64 v[250:251], v[242:243], -v[250:251]
	v_fma_f64 v[240:241], v[240:241], 2.0, -v[248:249]
	v_fma_f64 v[242:243], v[242:243], 2.0, -v[250:251]
	v_add_f64 v[252:253], v[0:1], -v[44:45]
	v_add_f64 v[254:255], v[2:3], -v[46:47]
	v_accvgpr_read_b32 v48, a62
	v_fma_f64 v[0:1], v[0:1], 2.0, -v[252:253]
	v_fma_f64 v[2:3], v[2:3], 2.0, -v[254:255]
	v_add_f64 v[4:5], v[8:9], -v[4:5]
	v_add_f64 v[6:7], v[10:11], -v[6:7]
	s_waitcnt lgkmcnt(0)
	s_barrier
	ds_write_b128 v48, v[240:243]
	ds_write_b128 v48, v[248:251] offset:16
	v_accvgpr_read_b32 v48, a63
	v_fma_f64 v[8:9], v[8:9], 2.0, -v[4:5]
	v_fma_f64 v[10:11], v[10:11], 2.0, -v[6:7]
	v_add_f64 v[12:13], v[16:17], -v[12:13]
	v_add_f64 v[14:15], v[18:19], -v[14:15]
	ds_write_b128 v48, v[0:3]
	ds_write_b128 v48, v[252:255] offset:16
	v_accvgpr_read_b32 v48, a64
	v_fma_f64 v[16:17], v[16:17], 2.0, -v[12:13]
	v_fma_f64 v[18:19], v[18:19], 2.0, -v[14:15]
	v_add_f64 v[20:21], v[24:25], -v[20:21]
	v_add_f64 v[22:23], v[26:27], -v[22:23]
	;; [unrolled: 7-line block ×4, first 2 shown]
	v_add_f64 v[44:45], v[244:245], -v[236:237]
	v_add_f64 v[46:47], v[246:247], -v[238:239]
	ds_write_b128 v48, v[24:27]
	ds_write_b128 v48, v[20:23] offset:16
	v_accvgpr_read_b32 v48, a67
	v_fma_f64 v[40:41], v[40:41], 2.0, -v[36:37]
	v_fma_f64 v[42:43], v[42:43], 2.0, -v[38:39]
	;; [unrolled: 1-line block ×4, first 2 shown]
	ds_write_b128 v48, v[32:35]
	ds_write_b128 v48, v[28:31] offset:16
	v_accvgpr_read_b32 v48, a68
	ds_write_b128 v48, v[40:43]
	ds_write_b128 v48, v[36:39] offset:16
	s_and_saveexec_b64 s[0:1], s[4:5]
	s_cbranch_execz .LBB0_21
; %bb.20:
	ds_write_b128 v75, v[236:239]
	ds_write_b128 v75, v[44:47] offset:16
.LBB0_21:
	s_or_b64 exec, exec, s[0:1]
	s_waitcnt lgkmcnt(0)
	s_barrier
	s_and_saveexec_b64 s[0:1], s[2:3]
	s_cbranch_execz .LBB0_23
; %bb.22:
	ds_read_b128 v[240:243], v53
	ds_read_b128 v[248:251], v53 offset:960
	ds_read_b128 v[0:3], v53 offset:1920
	;; [unrolled: 1-line block ×16, first 2 shown]
.LBB0_23:
	s_or_b64 exec, exec, s[0:1]
	v_accvgpr_read_b32 v56, a82
	v_accvgpr_read_b32 v58, a84
	;; [unrolled: 1-line block ×4, first 2 shown]
	s_waitcnt lgkmcnt(14)
	v_mul_f64 v[48:49], v[58:59], v[248:249]
	v_fma_f64 v[128:129], v[56:57], v[250:251], -v[48:49]
	v_accvgpr_read_b32 v48, a78
	v_accvgpr_read_b32 v50, a80
	;; [unrolled: 1-line block ×4, first 2 shown]
	v_mul_f64 v[244:245], v[50:51], v[2:3]
	v_fmac_f64_e32 v[244:245], v[48:49], v[0:1]
	v_mul_f64 v[0:1], v[50:51], v[0:1]
	v_fma_f64 v[130:131], v[48:49], v[2:3], -v[0:1]
	v_accvgpr_read_b32 v48, a74
	v_accvgpr_read_b32 v50, a76
	;; [unrolled: 1-line block ×3, first 2 shown]
	v_mul_f64 v[54:55], v[58:59], v[250:251]
	v_accvgpr_read_b32 v49, a75
	s_waitcnt lgkmcnt(13)
	v_mul_f64 v[246:247], v[50:51], v[254:255]
	v_mul_f64 v[0:1], v[50:51], v[252:253]
	v_fmac_f64_e32 v[54:55], v[56:57], v[248:249]
	v_fmac_f64_e32 v[246:247], v[48:49], v[252:253]
	v_fma_f64 v[56:57], v[48:49], v[254:255], -v[0:1]
	v_accvgpr_read_b32 v48, a70
	v_accvgpr_read_b32 v50, a72
	;; [unrolled: 1-line block ×4, first 2 shown]
	s_waitcnt lgkmcnt(12)
	v_mul_f64 v[248:249], v[50:51], v[10:11]
	v_mul_f64 v[0:1], v[50:51], v[8:9]
	v_fmac_f64_e32 v[248:249], v[48:49], v[8:9]
	v_fma_f64 v[48:49], v[48:49], v[10:11], -v[0:1]
	s_waitcnt lgkmcnt(11)
	v_mul_f64 v[8:9], v[86:87], v[6:7]
	v_mul_f64 v[0:1], v[86:87], v[4:5]
	v_fmac_f64_e32 v[8:9], v[84:85], v[4:5]
	v_fma_f64 v[84:85], v[84:85], v[6:7], -v[0:1]
	s_waitcnt lgkmcnt(10)
	v_mul_f64 v[0:1], v[82:83], v[16:17]
	v_accvgpr_read_b32 v2, a86
	v_fma_f64 v[86:87], v[80:81], v[18:19], -v[0:1]
	s_waitcnt lgkmcnt(9)
	v_mul_f64 v[0:1], v[78:79], v[12:13]
	v_accvgpr_read_b32 v4, a88
	v_accvgpr_read_b32 v5, a89
	v_mul_f64 v[10:11], v[82:83], v[18:19]
	v_fma_f64 v[50:51], v[76:77], v[14:15], -v[0:1]
	v_accvgpr_read_b32 v3, a87
	s_waitcnt lgkmcnt(8)
	v_mul_f64 v[18:19], v[4:5], v[26:27]
	v_mul_f64 v[0:1], v[4:5], v[24:25]
	v_fmac_f64_e32 v[18:19], v[2:3], v[24:25]
	v_fma_f64 v[58:59], v[2:3], v[26:27], -v[0:1]
	s_waitcnt lgkmcnt(7)
	v_mul_f64 v[24:25], v[102:103], v[22:23]
	v_mul_f64 v[0:1], v[102:103], v[20:21]
	v_fmac_f64_e32 v[24:25], v[100:101], v[20:21]
	v_fma_f64 v[100:101], v[100:101], v[22:23], -v[0:1]
	s_waitcnt lgkmcnt(6)
	v_mul_f64 v[0:1], v[98:99], v[32:33]
	v_mul_f64 v[20:21], v[98:99], v[34:35]
	v_fma_f64 v[98:99], v[96:97], v[34:35], -v[0:1]
	s_waitcnt lgkmcnt(5)
	v_mul_f64 v[22:23], v[94:95], v[30:31]
	v_mul_f64 v[0:1], v[94:95], v[28:29]
	v_fmac_f64_e32 v[22:23], v[92:93], v[28:29]
	v_fma_f64 v[92:93], v[92:93], v[30:31], -v[0:1]
	s_waitcnt lgkmcnt(4)
	v_mul_f64 v[0:1], v[90:91], v[40:41]
	v_mul_f64 v[26:27], v[90:91], v[42:43]
	v_fma_f64 v[42:43], v[88:89], v[42:43], -v[0:1]
	s_waitcnt lgkmcnt(3)
	v_mul_f64 v[0:1], v[118:119], v[36:37]
	v_fmac_f64_e32 v[26:27], v[88:89], v[40:41]
	v_fma_f64 v[88:89], v[116:117], v[38:39], -v[0:1]
	s_waitcnt lgkmcnt(2)
	v_mul_f64 v[0:1], v[114:115], v[236:237]
	v_fmac_f64_e32 v[10:11], v[80:81], v[16:17]
	v_mul_f64 v[16:17], v[78:79], v[14:15]
	v_mul_f64 v[14:15], v[118:119], v[38:39]
	v_fma_f64 v[90:91], v[112:113], v[238:239], -v[0:1]
	s_waitcnt lgkmcnt(1)
	v_mul_f64 v[38:39], v[110:111], v[46:47]
	v_mul_f64 v[0:1], v[110:111], v[44:45]
	v_fmac_f64_e32 v[38:39], v[108:109], v[44:45]
	v_fma_f64 v[44:45], v[108:109], v[46:47], -v[0:1]
	s_waitcnt lgkmcnt(0)
	v_mul_f64 v[0:1], v[106:107], v[152:153]
	v_mul_f64 v[40:41], v[106:107], v[154:155]
	v_fma_f64 v[94:95], v[104:105], v[154:155], -v[0:1]
	s_mov_b32 s0, 0x75d4884
	s_mov_b32 s16, 0x2a9d6da3
	;; [unrolled: 1-line block ×3, first 2 shown]
	v_fmac_f64_e32 v[40:41], v[104:105], v[152:153]
	v_add_f64 v[106:107], v[128:129], v[94:95]
	v_add_f64 v[110:111], v[128:129], -v[94:95]
	s_mov_b32 s1, 0x3fe7a5f6
	s_mov_b32 s17, 0xbfe58eea
	v_add_f64 v[118:119], v[130:131], -v[44:45]
	s_mov_b32 s25, 0xbfefdd0d
	v_fmac_f64_e32 v[16:17], v[76:77], v[12:13]
	v_fmac_f64_e32 v[14:15], v[116:117], v[36:37]
	v_mul_f64 v[36:37], v[114:115], v[238:239]
	v_add_f64 v[104:105], v[54:55], v[40:41]
	v_mul_f64 v[102:103], v[110:111], s[16:17]
	v_mul_f64 v[2:3], v[106:107], s[0:1]
	s_mov_b32 s14, 0x3259b75e
	v_mul_f64 v[12:13], v[118:119], s[24:25]
	v_fmac_f64_e32 v[36:37], v[112:113], v[236:237]
	v_add_f64 v[114:115], v[54:55], -v[40:41]
	v_fma_f64 v[0:1], v[104:105], s[0:1], -v[102:103]
	v_accvgpr_write_b32 a87, v3
	s_mov_b32 s20, 0x7c9e640b
	v_add_f64 v[108:109], v[244:245], v[38:39]
	v_add_f64 v[112:113], v[130:131], v[44:45]
	s_mov_b32 s15, 0x3fb79ee6
	v_accvgpr_write_b32 a89, v13
	v_add_f64 v[0:1], v[240:241], v[0:1]
	v_accvgpr_write_b32 a86, v2
	v_fma_f64 v[2:3], s[16:17], v[114:115], v[2:3]
	s_mov_b32 s6, 0x2b2883cd
	s_mov_b32 s21, 0xbfeca52d
	v_add_f64 v[238:239], v[244:245], -v[38:39]
	v_mul_f64 v[28:29], v[112:113], s[14:15]
	v_accvgpr_write_b32 a88, v12
	v_fma_f64 v[12:13], v[108:109], s[14:15], -v[12:13]
	s_mov_b32 s28, 0x6c9a05f6
	v_add_f64 v[2:3], v[242:243], v[2:3]
	s_mov_b32 s7, 0x3fdc86fa
	v_mul_f64 v[4:5], v[110:111], s[20:21]
	v_add_f64 v[0:1], v[12:13], v[0:1]
	v_fma_f64 v[12:13], s[24:25], v[238:239], v[28:29]
	s_mov_b32 s18, 0x6ed5f1bb
	s_mov_b32 s29, 0xbfe9895b
	v_mul_f64 v[6:7], v[106:107], s[6:7]
	v_accvgpr_write_b32 a75, v5
	v_accvgpr_write_b32 a107, v29
	v_add_f64 v[2:3], v[12:13], v[2:3]
	s_mov_b32 s19, 0xbfe348c8
	v_mul_f64 v[12:13], v[118:119], s[28:29]
	v_accvgpr_write_b32 a74, v4
	v_fma_f64 v[4:5], v[104:105], s[6:7], -v[4:5]
	v_accvgpr_write_b32 a71, v7
	v_accvgpr_write_b32 a106, v28
	v_mul_f64 v[28:29], v[112:113], s[18:19]
	v_accvgpr_write_b32 a77, v13
	v_add_f64 v[4:5], v[240:241], v[4:5]
	v_accvgpr_write_b32 a70, v6
	v_fma_f64 v[6:7], s[20:21], v[114:115], v[6:7]
	v_accvgpr_write_b32 a76, v12
	v_fma_f64 v[12:13], v[108:109], s[18:19], -v[12:13]
	v_accvgpr_write_b32 a149, v29
	v_add_f64 v[6:7], v[242:243], v[6:7]
	v_add_f64 v[4:5], v[12:13], v[4:5]
	v_accvgpr_write_b32 a148, v28
	v_fma_f64 v[12:13], s[28:29], v[238:239], v[28:29]
	v_add_f64 v[28:29], v[56:57], -v[90:91]
	v_add_f64 v[6:7], v[12:13], v[6:7]
	v_mul_f64 v[12:13], v[28:29], s[28:29]
	v_add_f64 v[116:117], v[246:247], v[36:37]
	v_add_f64 v[152:153], v[56:57], v[90:91]
	v_accvgpr_write_b32 a109, v13
	v_add_f64 v[72:73], v[246:247], -v[36:37]
	v_mul_f64 v[30:31], v[152:153], s[18:19]
	v_accvgpr_write_b32 a108, v12
	v_fma_f64 v[12:13], v[116:117], s[18:19], -v[12:13]
	s_mov_b32 s48, 0xacd6c6b4
	v_add_f64 v[0:1], v[12:13], v[0:1]
	v_fma_f64 v[12:13], s[28:29], v[72:73], v[30:31]
	s_mov_b32 s26, 0x7faef3
	s_mov_b32 s49, 0x3fc7851a
	v_accvgpr_write_b32 a111, v31
	v_add_f64 v[2:3], v[12:13], v[2:3]
	s_mov_b32 s27, 0xbfef7484
	v_mul_f64 v[12:13], v[28:29], s[48:49]
	v_accvgpr_write_b32 a110, v30
	v_mul_f64 v[30:31], v[152:153], s[26:27]
	v_accvgpr_write_b32 a73, v13
	v_accvgpr_write_b32 a72, v12
	v_fma_f64 v[12:13], v[116:117], s[26:27], -v[12:13]
	v_accvgpr_write_b32 a163, v31
	v_add_f64 v[74:75], v[48:49], -v[88:89]
	s_mov_b32 s37, 0xbfc7851a
	s_mov_b32 s36, s48
	v_add_f64 v[4:5], v[12:13], v[4:5]
	v_accvgpr_write_b32 a162, v30
	v_fma_f64 v[12:13], s[48:49], v[72:73], v[30:31]
	v_add_f64 v[154:155], v[248:249], v[14:15]
	v_add_f64 v[30:31], v[48:49], v[88:89]
	v_mul_f64 v[132:133], v[74:75], s[36:37]
	v_add_f64 v[6:7], v[12:13], v[6:7]
	v_add_f64 v[76:77], v[248:249], -v[14:15]
	v_mul_f64 v[134:135], v[30:31], s[26:27]
	v_fma_f64 v[12:13], v[154:155], s[26:27], -v[132:133]
	v_add_f64 v[0:1], v[12:13], v[0:1]
	v_fma_f64 v[12:13], s[36:37], v[76:77], v[134:135]
	v_add_f64 v[2:3], v[12:13], v[2:3]
	s_mov_b32 s30, 0xc61f0d01
	v_mul_f64 v[12:13], v[74:75], s[42:43]
	s_mov_b32 s31, 0xbfd183b1
	v_accvgpr_write_b32 a155, v13
	v_fmac_f64_e32 v[20:21], v[96:97], v[32:33]
	v_mul_f64 v[32:33], v[30:31], s[30:31]
	v_accvgpr_write_b32 a154, v12
	v_fma_f64 v[12:13], v[154:155], s[30:31], -v[12:13]
	s_mov_b32 s46, 0x4363dd80
	v_add_f64 v[4:5], v[12:13], v[4:5]
	v_fma_f64 v[12:13], s[42:43], v[76:77], v[32:33]
	v_add_f64 v[78:79], v[84:85], -v[42:43]
	s_mov_b32 s47, 0x3fe0d888
	v_accvgpr_write_b32 a171, v33
	v_add_f64 v[6:7], v[12:13], v[6:7]
	s_mov_b32 s34, 0x910ea3b9
	v_mul_f64 v[12:13], v[78:79], s[46:47]
	v_accvgpr_write_b32 a170, v32
	v_add_f64 v[34:35], v[8:9], v[26:27]
	v_add_f64 v[32:33], v[84:85], v[42:43]
	s_mov_b32 s35, 0xbfeb34fa
	v_accvgpr_write_b32 a121, v13
	v_add_f64 v[66:67], v[8:9], -v[26:27]
	v_mul_f64 v[46:47], v[32:33], s[34:35]
	v_accvgpr_write_b32 a120, v12
	v_fma_f64 v[12:13], v[34:35], s[34:35], -v[12:13]
	v_add_f64 v[0:1], v[12:13], v[0:1]
	v_fma_f64 v[12:13], s[46:47], v[66:67], v[46:47]
	s_mov_b32 s55, 0x3fe58eea
	s_mov_b32 s54, s16
	v_add_f64 v[2:3], v[12:13], v[2:3]
	v_mul_f64 v[12:13], v[78:79], s[54:55]
	v_accvgpr_write_b32 a141, v47
	v_accvgpr_write_b32 a167, v13
	;; [unrolled: 1-line block ×3, first 2 shown]
	v_mul_f64 v[46:47], v[32:33], s[0:1]
	v_accvgpr_write_b32 a166, v12
	v_fma_f64 v[12:13], v[34:35], s[0:1], -v[12:13]
	v_add_f64 v[4:5], v[12:13], v[4:5]
	v_fma_f64 v[12:13], s[54:55], v[66:67], v[46:47]
	v_add_f64 v[252:253], v[86:87], -v[92:93]
	v_add_f64 v[6:7], v[12:13], v[6:7]
	v_mul_f64 v[12:13], v[252:253], s[42:43]
	v_accvgpr_write_b32 a81, v49
	v_accvgpr_write_b32 a179, v47
	v_add_f64 v[236:237], v[10:11], v[22:23]
	v_add_f64 v[250:251], v[86:87], v[92:93]
	v_accvgpr_write_b32 a143, v13
	v_accvgpr_write_b32 a80, v48
	;; [unrolled: 1-line block ×3, first 2 shown]
	v_add_f64 v[48:49], v[10:11], -v[22:23]
	v_mul_f64 v[46:47], v[250:251], s[30:31]
	v_accvgpr_write_b32 a142, v12
	v_fma_f64 v[12:13], v[236:237], s[30:31], -v[12:13]
	s_mov_b32 s40, 0x5d8e7cdc
	v_add_f64 v[0:1], v[12:13], v[0:1]
	v_fma_f64 v[12:13], s[42:43], v[48:49], v[46:47]
	s_mov_b32 s41, 0xbfd71e95
	v_add_f64 v[2:3], v[12:13], v[2:3]
	s_mov_b32 s38, 0x370991
	v_mul_f64 v[12:13], v[252:253], s[40:41]
	v_accvgpr_write_b32 a151, v47
	s_mov_b32 s39, 0x3fedd6d0
	v_accvgpr_write_b32 a177, v13
	v_accvgpr_write_b32 a150, v46
	v_mul_f64 v[46:47], v[250:251], s[38:39]
	v_accvgpr_write_b32 a176, v12
	v_fma_f64 v[12:13], v[236:237], s[38:39], -v[12:13]
	v_add_f64 v[4:5], v[12:13], v[4:5]
	v_fma_f64 v[12:13], s[40:41], v[48:49], v[46:47]
	v_accvgpr_write_b32 a191, v47
	v_add_f64 v[6:7], v[12:13], v[6:7]
	v_add_f64 v[12:13], v[50:51], -v[98:99]
	s_mov_b32 s51, 0x3feca52d
	s_mov_b32 s50, s20
	v_accvgpr_write_b32 a190, v46
	v_mul_f64 v[46:47], v[12:13], s[50:51]
	v_add_f64 v[64:65], v[16:17], v[20:21]
	v_add_f64 v[254:255], v[50:51], v[98:99]
	v_accvgpr_write_b32 a83, v51
	v_accvgpr_write_b32 a153, v47
	v_add_f64 v[70:71], v[16:17], -v[20:21]
	v_accvgpr_write_b32 a82, v50
	v_mul_f64 v[50:51], v[254:255], s[6:7]
	v_accvgpr_write_b32 a152, v46
	v_fma_f64 v[46:47], v[64:65], s[6:7], -v[46:47]
	v_add_f64 v[0:1], v[46:47], v[0:1]
	v_fma_f64 v[46:47], s[50:51], v[70:71], v[50:51]
	v_accvgpr_write_b32 a79, v57
	v_accvgpr_write_b32 a165, v51
	v_add_f64 v[2:3], v[46:47], v[2:3]
	v_mul_f64 v[46:47], v[12:13], s[24:25]
	v_accvgpr_write_b32 a78, v56
	v_accvgpr_write_b32 a164, v50
	v_mul_f64 v[56:57], v[254:255], s[14:15]
	v_accvgpr_write_b32 a181, v47
	v_fma_f64 v[50:51], v[64:65], s[14:15], -v[46:47]
	v_add_f64 v[68:69], v[58:59], -v[100:101]
	s_mov_b32 s53, 0x3fd71e95
	s_mov_b32 s52, s40
	v_accvgpr_write_b32 a180, v46
	v_add_f64 v[4:5], v[50:51], v[4:5]
	v_accvgpr_write_b32 a195, v57
	v_fma_f64 v[50:51], s[24:25], v[70:71], v[56:57]
	v_add_f64 v[80:81], v[18:19], v[24:25]
	v_add_f64 v[82:83], v[58:59], v[100:101]
	v_mul_f64 v[46:47], v[68:69], s[52:53]
	v_accvgpr_write_b32 a194, v56
	v_add_f64 v[6:7], v[50:51], v[6:7]
	v_add_f64 v[96:97], v[18:19], -v[24:25]
	v_mul_f64 v[56:57], v[82:83], s[38:39]
	v_fma_f64 v[50:51], v[80:81], s[38:39], -v[46:47]
	v_add_f64 v[60:61], v[50:51], v[0:1]
	v_fma_f64 v[0:1], s[52:53], v[96:97], v[56:57]
	s_mov_b32 s45, 0xbfe0d888
	s_mov_b32 s44, s46
	v_add_f64 v[62:63], v[0:1], v[2:3]
	v_mul_f64 v[2:3], v[68:69], s[44:45]
	v_accvgpr_write_b32 a169, v57
	v_mul_f64 v[50:51], v[82:83], s[34:35]
	v_fma_f64 v[0:1], v[80:81], s[34:35], -v[2:3]
	v_accvgpr_write_b32 a85, v59
	v_accvgpr_write_b32 a168, v56
	v_add_f64 v[56:57], v[0:1], v[4:5]
	v_fma_f64 v[0:1], s[44:45], v[96:97], v[50:51]
	v_accvgpr_write_b32 a84, v58
	v_add_f64 v[58:59], v[0:1], v[6:7]
	s_barrier
	s_and_saveexec_b64 s[22:23], s[2:3]
	s_cbranch_execz .LBB0_25
; %bb.24:
	v_accvgpr_write_b32 a185, v47
	v_accvgpr_write_b32 a183, v103
	;; [unrolled: 1-line block ×3, first 2 shown]
	v_mul_f64 v[46:47], v[114:115], s[36:37]
	v_accvgpr_write_b32 a147, v43
	v_accvgpr_write_b32 a127, v95
	;; [unrolled: 1-line block ×3, first 2 shown]
	v_mul_f64 v[102:103], v[238:239], s[52:53]
	v_accvgpr_write_b32 a135, v45
	v_accvgpr_write_b32 a146, v42
	v_fma_f64 v[42:43], s[26:27], v[106:107], v[46:47]
	v_accvgpr_write_b32 a157, v99
	v_accvgpr_write_b32 a125, v91
	;; [unrolled: 1-line block ×3, first 2 shown]
	v_mul_f64 v[94:95], v[72:73], s[44:45]
	v_accvgpr_write_b32 a145, v101
	v_accvgpr_write_b32 a134, v44
	v_fma_f64 v[44:45], s[38:39], v[112:113], v[102:103]
	v_add_f64 v[42:43], v[242:243], v[42:43]
	v_accvgpr_write_b32 a159, v129
	v_accvgpr_write_b32 a156, v98
	v_mul_f64 v[98:99], v[110:111], s[36:37]
	v_accvgpr_write_b32 a62, v120
	v_accvgpr_write_b32 a139, v87
	;; [unrolled: 1-line block ×3, first 2 shown]
	v_mul_f64 v[90:91], v[76:77], s[54:55]
	v_accvgpr_write_b32 a133, v93
	v_accvgpr_write_b32 a144, v100
	v_fma_f64 v[100:101], s[34:35], v[152:153], v[94:95]
	v_add_f64 v[42:43], v[44:45], v[42:43]
	v_accvgpr_write_b32 a158, v128
	v_mul_f64 v[128:129], v[118:119], s[52:53]
	v_accvgpr_write_b32 a161, v131
	v_accvgpr_write_b32 a63, v121
	;; [unrolled: 1-line block ×4, first 2 shown]
	v_fma_f64 v[120:121], v[104:105], s[26:27], -v[98:99]
	v_accvgpr_write_b32 a205, v51
	v_accvgpr_write_b32 a138, v86
	v_mul_f64 v[86:87], v[66:67], s[28:29]
	v_accvgpr_write_b32 a123, v89
	v_accvgpr_write_b32 a132, v92
	v_fma_f64 v[92:93], s[0:1], v[30:31], v[90:91]
	v_add_f64 v[42:43], v[100:101], v[42:43]
	v_mul_f64 v[100:101], v[28:29], s[44:45]
	v_accvgpr_write_b32 a160, v130
	v_fma_f64 v[130:131], v[108:109], s[38:39], -v[128:129]
	v_add_f64 v[120:121], v[240:241], v[120:121]
	s_mov_b32 s3, 0xbfeec746
	s_mov_b32 s2, s42
	v_accvgpr_write_b32 a204, v50
	v_mul_f64 v[50:51], v[48:49], s[50:51]
	v_accvgpr_write_b32 a137, v85
	v_accvgpr_write_b32 a122, v88
	v_fma_f64 v[88:89], s[18:19], v[32:33], v[86:87]
	v_add_f64 v[42:43], v[92:93], v[42:43]
	v_mul_f64 v[92:93], v[74:75], s[54:55]
	v_add_f64 v[120:121], v[130:131], v[120:121]
	v_fma_f64 v[122:123], v[116:117], s[34:35], -v[100:101]
	s_mov_b32 s59, 0x3fefdd0d
	s_mov_b32 s58, s24
	v_mul_f64 v[4:5], v[70:71], s[2:3]
	v_accvgpr_write_b32 a136, v84
	v_fma_f64 v[84:85], s[6:7], v[250:251], v[50:51]
	v_add_f64 v[42:43], v[88:89], v[42:43]
	v_mul_f64 v[88:89], v[78:79], s[28:29]
	v_add_f64 v[120:121], v[122:123], v[120:121]
	v_fma_f64 v[122:123], v[154:155], s[0:1], -v[92:93]
	v_mul_f64 v[0:1], v[96:97], s[58:59]
	v_accvgpr_write_b32 a199, v3
	v_fma_f64 v[6:7], s[30:31], v[254:255], v[4:5]
	v_add_f64 v[42:43], v[84:85], v[42:43]
	v_mul_f64 v[84:85], v[252:253], s[50:51]
	v_add_f64 v[120:121], v[122:123], v[120:121]
	v_fma_f64 v[122:123], v[34:35], s[18:19], -v[88:89]
	v_accvgpr_write_b32 a198, v2
	v_fma_f64 v[2:3], s[14:15], v[82:83], v[0:1]
	v_add_f64 v[6:7], v[6:7], v[42:43]
	v_accvgpr_write_b32 a193, v135
	v_mul_f64 v[42:43], v[12:13], s[2:3]
	v_add_f64 v[120:121], v[122:123], v[120:121]
	v_fma_f64 v[122:123], v[236:237], s[6:7], -v[84:85]
	v_accvgpr_write_b32 a192, v134
	v_add_f64 v[134:135], v[2:3], v[6:7]
	v_mul_f64 v[2:3], v[68:69], s[58:59]
	v_fma_f64 v[44:45], v[64:65], s[30:31], -v[42:43]
	v_add_f64 v[120:121], v[122:123], v[120:121]
	v_fma_f64 v[6:7], v[80:81], s[14:15], -v[2:3]
	v_add_f64 v[44:45], v[44:45], v[120:121]
	v_accvgpr_write_b32 a197, v133
	v_fma_f64 v[46:47], v[106:107], s[26:27], -v[46:47]
	v_accvgpr_write_b32 a196, v132
	v_add_f64 v[132:133], v[6:7], v[44:45]
	v_fma_f64 v[6:7], v[250:251], s[6:7], -v[50:51]
	v_fma_f64 v[50:51], v[30:31], s[0:1], -v[90:91]
	;; [unrolled: 1-line block ×3, first 2 shown]
	v_add_f64 v[46:47], v[242:243], v[46:47]
	v_fma_f64 v[44:45], v[32:33], s[18:19], -v[86:87]
	v_fma_f64 v[86:87], v[152:153], s[34:35], -v[94:95]
	v_add_f64 v[46:47], v[90:91], v[46:47]
	v_add_f64 v[46:47], v[86:87], v[46:47]
	;; [unrolled: 1-line block ×4, first 2 shown]
	v_fma_f64 v[4:5], v[254:255], s[30:31], -v[4:5]
	v_add_f64 v[6:7], v[6:7], v[44:45]
	v_fma_f64 v[0:1], v[82:83], s[14:15], -v[0:1]
	v_add_f64 v[4:5], v[4:5], v[6:7]
	v_fmac_f64_e32 v[98:99], s[26:27], v[104:105]
	v_add_f64 v[4:5], v[0:1], v[4:5]
	v_fmac_f64_e32 v[128:129], s[38:39], v[108:109]
	;; [unrolled: 2-line block ×4, first 2 shown]
	v_add_f64 v[0:1], v[100:101], v[0:1]
	v_mul_f64 v[94:95], v[114:115], s[44:45]
	v_fmac_f64_e32 v[88:89], s[18:19], v[34:35]
	v_add_f64 v[0:1], v[92:93], v[0:1]
	v_mul_f64 v[90:91], v[238:239], s[50:51]
	v_fma_f64 v[98:99], s[34:35], v[106:107], v[94:95]
	v_fmac_f64_e32 v[84:85], s[6:7], v[236:237]
	v_add_f64 v[0:1], v[88:89], v[0:1]
	s_mov_b32 s57, 0x3fe9895b
	s_mov_b32 s56, s28
	v_mul_f64 v[86:87], v[72:73], s[24:25]
	v_fma_f64 v[92:93], s[6:7], v[112:113], v[90:91]
	v_add_f64 v[98:99], v[242:243], v[98:99]
	v_mul_f64 v[102:103], v[110:111], s[44:45]
	v_fmac_f64_e32 v[42:43], s[30:31], v[64:65]
	v_add_f64 v[0:1], v[84:85], v[0:1]
	v_mul_f64 v[50:51], v[76:77], s[56:57]
	v_fma_f64 v[88:89], s[14:15], v[152:153], v[86:87]
	v_add_f64 v[92:93], v[92:93], v[98:99]
	v_mul_f64 v[98:99], v[118:119], s[50:51]
	v_fma_f64 v[120:121], v[104:105], s[34:35], -v[102:103]
	v_fma_f64 v[94:95], v[106:107], s[34:35], -v[94:95]
	v_fmac_f64_e32 v[2:3], s[14:15], v[80:81]
	v_add_f64 v[0:1], v[42:43], v[0:1]
	v_mul_f64 v[44:45], v[66:67], s[40:41]
	v_fma_f64 v[84:85], s[18:19], v[30:31], v[50:51]
	v_add_f64 v[88:89], v[88:89], v[92:93]
	v_mul_f64 v[92:93], v[28:29], s[24:25]
	v_fma_f64 v[100:101], v[108:109], s[6:7], -v[98:99]
	v_add_f64 v[120:121], v[240:241], v[120:121]
	v_fma_f64 v[90:91], v[112:113], s[6:7], -v[90:91]
	v_add_f64 v[94:95], v[242:243], v[94:95]
	v_add_f64 v[2:3], v[2:3], v[0:1]
	v_accvgpr_write_b32 a131, v5
	v_mul_f64 v[6:7], v[48:49], s[36:37]
	v_fma_f64 v[46:47], s[38:39], v[32:33], v[44:45]
	v_add_f64 v[84:85], v[84:85], v[88:89]
	v_mul_f64 v[88:89], v[74:75], s[56:57]
	v_add_f64 v[100:101], v[100:101], v[120:121]
	v_fma_f64 v[120:121], v[116:117], s[14:15], -v[92:93]
	v_fma_f64 v[86:87], v[152:153], s[14:15], -v[86:87]
	v_add_f64 v[90:91], v[90:91], v[94:95]
	v_accvgpr_write_b32 a130, v4
	v_accvgpr_write_b32 a129, v3
	;; [unrolled: 1-line block ×3, first 2 shown]
	v_mul_f64 v[2:3], v[70:71], s[54:55]
	v_fma_f64 v[42:43], s[26:27], v[250:251], v[6:7]
	v_add_f64 v[46:47], v[46:47], v[84:85]
	v_mul_f64 v[84:85], v[78:79], s[40:41]
	v_add_f64 v[100:101], v[120:121], v[100:101]
	v_fma_f64 v[120:121], v[154:155], s[18:19], -v[88:89]
	v_fma_f64 v[50:51], v[30:31], s[18:19], -v[50:51]
	v_add_f64 v[86:87], v[86:87], v[90:91]
	v_fma_f64 v[4:5], s[0:1], v[254:255], v[2:3]
	v_add_f64 v[42:43], v[42:43], v[46:47]
	v_mul_f64 v[46:47], v[252:253], s[36:37]
	v_add_f64 v[100:101], v[120:121], v[100:101]
	v_fma_f64 v[120:121], v[34:35], s[38:39], -v[84:85]
	v_fma_f64 v[44:45], v[32:33], s[38:39], -v[44:45]
	v_add_f64 v[50:51], v[50:51], v[86:87]
	v_add_f64 v[4:5], v[4:5], v[42:43]
	v_mul_f64 v[42:43], v[12:13], s[54:55]
	v_add_f64 v[100:101], v[120:121], v[100:101]
	v_fma_f64 v[120:121], v[236:237], s[26:27], -v[46:47]
	v_fma_f64 v[6:7], v[250:251], s[26:27], -v[6:7]
	v_add_f64 v[44:45], v[44:45], v[50:51]
	v_mul_f64 v[0:1], v[96:97], s[2:3]
	v_add_f64 v[100:101], v[120:121], v[100:101]
	v_fma_f64 v[120:121], v[64:65], s[0:1], -v[42:43]
	v_fma_f64 v[2:3], v[254:255], s[0:1], -v[2:3]
	v_add_f64 v[6:7], v[6:7], v[44:45]
	v_add_f64 v[100:101], v[120:121], v[100:101]
	v_fma_f64 v[120:121], s[30:31], v[82:83], v[0:1]
	v_fma_f64 v[0:1], v[82:83], s[30:31], -v[0:1]
	v_add_f64 v[2:3], v[2:3], v[6:7]
	v_fmac_f64_e32 v[102:103], s[34:35], v[104:105]
	v_add_f64 v[2:3], v[0:1], v[2:3]
	v_fmac_f64_e32 v[98:99], s[6:7], v[108:109]
	;; [unrolled: 2-line block ×4, first 2 shown]
	v_add_f64 v[0:1], v[92:93], v[0:1]
	v_mul_f64 v[92:93], v[114:115], s[28:29]
	v_fmac_f64_e32 v[84:85], s[38:39], v[34:35]
	v_add_f64 v[0:1], v[88:89], v[0:1]
	v_mul_f64 v[88:89], v[238:239], s[42:43]
	v_fma_f64 v[94:95], s[18:19], v[106:107], v[92:93]
	v_fmac_f64_e32 v[46:47], s[26:27], v[236:237]
	v_add_f64 v[0:1], v[84:85], v[0:1]
	v_mul_f64 v[84:85], v[72:73], s[40:41]
	v_fma_f64 v[90:91], s[30:31], v[112:113], v[88:89]
	v_add_f64 v[94:95], v[242:243], v[94:95]
	v_add_f64 v[122:123], v[120:121], v[4:5]
	v_mul_f64 v[4:5], v[68:69], s[2:3]
	v_fmac_f64_e32 v[42:43], s[0:1], v[64:65]
	v_add_f64 v[0:1], v[46:47], v[0:1]
	v_mul_f64 v[46:47], v[76:77], s[44:45]
	v_fma_f64 v[86:87], s[38:39], v[152:153], v[84:85]
	v_add_f64 v[90:91], v[90:91], v[94:95]
	v_fma_f64 v[120:121], v[80:81], s[30:31], -v[4:5]
	v_fmac_f64_e32 v[4:5], s[30:31], v[80:81]
	v_add_f64 v[0:1], v[42:43], v[0:1]
	v_mul_f64 v[42:43], v[66:67], s[58:59]
	v_fma_f64 v[50:51], s[34:35], v[30:31], v[46:47]
	v_add_f64 v[86:87], v[86:87], v[90:91]
	v_add_f64 v[0:1], v[4:5], v[0:1]
	v_accvgpr_write_b32 a189, v3
	v_mul_f64 v[4:5], v[48:49], s[16:17]
	v_fma_f64 v[44:45], s[14:15], v[32:33], v[42:43]
	v_add_f64 v[50:51], v[50:51], v[86:87]
	v_mul_f64 v[90:91], v[110:111], s[28:29]
	v_accvgpr_write_b32 a188, v2
	v_accvgpr_write_b32 a187, v1
	;; [unrolled: 1-line block ×3, first 2 shown]
	v_mul_f64 v[0:1], v[70:71], s[36:37]
	v_fma_f64 v[6:7], s[0:1], v[250:251], v[4:5]
	v_add_f64 v[44:45], v[44:45], v[50:51]
	v_mul_f64 v[50:51], v[118:119], s[42:43]
	v_fma_f64 v[94:95], v[104:105], s[18:19], -v[90:91]
	v_fma_f64 v[2:3], s[26:27], v[254:255], v[0:1]
	v_add_f64 v[6:7], v[6:7], v[44:45]
	v_mul_f64 v[44:45], v[28:29], s[40:41]
	v_fma_f64 v[86:87], v[108:109], s[30:31], -v[50:51]
	v_add_f64 v[94:95], v[240:241], v[94:95]
	v_add_f64 v[2:3], v[2:3], v[6:7]
	v_mul_f64 v[6:7], v[74:75], s[44:45]
	v_add_f64 v[86:87], v[86:87], v[94:95]
	v_fma_f64 v[94:95], v[116:117], s[38:39], -v[44:45]
	v_add_f64 v[86:87], v[94:95], v[86:87]
	v_fma_f64 v[94:95], v[154:155], s[34:35], -v[6:7]
	v_add_f64 v[86:87], v[94:95], v[86:87]
	v_mul_f64 v[94:95], v[78:79], s[58:59]
	v_fma_f64 v[98:99], v[34:35], s[14:15], -v[94:95]
	v_add_f64 v[86:87], v[98:99], v[86:87]
	v_mul_f64 v[98:99], v[252:253], s[16:17]
	v_add_f64 v[120:121], v[120:121], v[100:101]
	v_fma_f64 v[100:101], v[236:237], s[0:1], -v[98:99]
	v_add_f64 v[86:87], v[100:101], v[86:87]
	v_mul_f64 v[100:101], v[12:13], s[36:37]
	v_fma_f64 v[102:103], v[64:65], s[26:27], -v[100:101]
	v_accvgpr_write_b32 a175, v123
	v_add_f64 v[86:87], v[102:103], v[86:87]
	v_mul_f64 v[102:103], v[96:97], s[50:51]
	v_accvgpr_write_b32 a174, v122
	v_accvgpr_write_b32 a173, v121
	;; [unrolled: 1-line block ×3, first 2 shown]
	v_fma_f64 v[120:121], s[6:7], v[82:83], v[102:103]
	v_add_f64 v[122:123], v[120:121], v[2:3]
	v_mul_f64 v[2:3], v[68:69], s[50:51]
	v_fma_f64 v[120:121], v[80:81], s[6:7], -v[2:3]
	v_add_f64 v[120:121], v[120:121], v[86:87]
	v_fma_f64 v[86:87], v[112:113], s[30:31], -v[88:89]
	v_fma_f64 v[88:89], v[106:107], s[18:19], -v[92:93]
	v_add_f64 v[88:89], v[242:243], v[88:89]
	v_add_f64 v[86:87], v[86:87], v[88:89]
	v_fma_f64 v[84:85], v[152:153], s[38:39], -v[84:85]
	v_add_f64 v[84:85], v[84:85], v[86:87]
	v_fma_f64 v[46:47], v[30:31], s[34:35], -v[46:47]
	;; [unrolled: 2-line block ×4, first 2 shown]
	v_fma_f64 v[0:1], v[254:255], s[26:27], -v[0:1]
	v_add_f64 v[4:5], v[4:5], v[42:43]
	v_fma_f64 v[46:47], v[82:83], s[6:7], -v[102:103]
	v_add_f64 v[0:1], v[0:1], v[4:5]
	v_fmac_f64_e32 v[90:91], s[18:19], v[104:105]
	v_add_f64 v[4:5], v[46:47], v[0:1]
	v_fmac_f64_e32 v[50:51], s[30:31], v[108:109]
	;; [unrolled: 2-line block ×5, first 2 shown]
	v_add_f64 v[0:1], v[6:7], v[0:1]
	v_mul_f64 v[92:93], v[114:115], s[2:3]
	v_fmac_f64_e32 v[98:99], s[0:1], v[236:237]
	v_add_f64 v[0:1], v[94:95], v[0:1]
	v_mul_f64 v[46:47], v[238:239], s[46:47]
	v_fma_f64 v[88:89], s[30:31], v[106:107], v[92:93]
	v_fmac_f64_e32 v[100:101], s[26:27], v[64:65]
	v_add_f64 v[0:1], v[98:99], v[0:1]
	v_mul_f64 v[44:45], v[72:73], s[54:55]
	v_fma_f64 v[50:51], s[34:35], v[112:113], v[46:47]
	v_add_f64 v[88:89], v[242:243], v[88:89]
	v_fmac_f64_e32 v[2:3], s[6:7], v[80:81]
	v_add_f64 v[0:1], v[100:101], v[0:1]
	v_mul_f64 v[42:43], v[76:77], s[20:21]
	v_add_f64 v[50:51], v[50:51], v[88:89]
	v_fma_f64 v[88:89], s[0:1], v[152:153], v[44:45]
	v_add_f64 v[2:3], v[2:3], v[0:1]
	v_accvgpr_write_b32 a209, v5
	v_mul_f64 v[6:7], v[66:67], s[36:37]
	v_add_f64 v[50:51], v[88:89], v[50:51]
	v_fma_f64 v[88:89], s[6:7], v[30:31], v[42:43]
	v_accvgpr_write_b32 a208, v4
	v_accvgpr_write_b32 a207, v3
	;; [unrolled: 1-line block ×3, first 2 shown]
	v_mul_f64 v[4:5], v[48:49], s[58:59]
	v_add_f64 v[50:51], v[88:89], v[50:51]
	v_fma_f64 v[88:89], s[26:27], v[32:33], v[6:7]
	v_fma_f64 v[92:93], v[106:107], s[30:31], -v[92:93]
	v_mul_f64 v[0:1], v[70:71], s[40:41]
	v_add_f64 v[50:51], v[88:89], v[50:51]
	v_fma_f64 v[88:89], s[14:15], v[250:251], v[4:5]
	v_fma_f64 v[46:47], v[112:113], s[34:35], -v[46:47]
	v_add_f64 v[92:93], v[242:243], v[92:93]
	v_fma_f64 v[2:3], s[38:39], v[254:255], v[0:1]
	v_add_f64 v[50:51], v[88:89], v[50:51]
	v_add_f64 v[46:47], v[46:47], v[92:93]
	v_fma_f64 v[44:45], v[152:153], s[0:1], -v[44:45]
	v_add_f64 v[2:3], v[2:3], v[50:51]
	v_mul_f64 v[50:51], v[110:111], s[2:3]
	v_add_f64 v[44:45], v[44:45], v[46:47]
	v_fma_f64 v[42:43], v[30:31], s[6:7], -v[42:43]
	v_fma_f64 v[88:89], v[104:105], s[30:31], -v[50:51]
	v_mul_f64 v[94:95], v[118:119], s[46:47]
	v_add_f64 v[42:43], v[42:43], v[44:45]
	v_fma_f64 v[6:7], v[32:33], s[26:27], -v[6:7]
	v_add_f64 v[88:89], v[240:241], v[88:89]
	v_fma_f64 v[90:91], v[108:109], s[34:35], -v[94:95]
	v_mul_f64 v[98:99], v[28:29], s[54:55]
	v_add_f64 v[6:7], v[6:7], v[42:43]
	v_fma_f64 v[4:5], v[250:251], s[14:15], -v[4:5]
	v_add_f64 v[88:89], v[90:91], v[88:89]
	v_fma_f64 v[90:91], v[116:117], s[0:1], -v[98:99]
	v_mul_f64 v[100:101], v[74:75], s[20:21]
	v_add_f64 v[4:5], v[4:5], v[6:7]
	v_fma_f64 v[0:1], v[254:255], s[38:39], -v[0:1]
	v_fmac_f64_e32 v[50:51], s[30:31], v[104:105]
	v_accvgpr_write_b32 a203, v123
	v_add_f64 v[88:89], v[90:91], v[88:89]
	v_fma_f64 v[90:91], v[154:155], s[6:7], -v[100:101]
	v_mul_f64 v[102:103], v[78:79], s[36:37]
	v_add_f64 v[0:1], v[0:1], v[4:5]
	v_fmac_f64_e32 v[94:95], s[34:35], v[108:109]
	v_add_f64 v[4:5], v[240:241], v[50:51]
	v_accvgpr_write_b32 a202, v122
	v_accvgpr_write_b32 a201, v121
	;; [unrolled: 1-line block ×3, first 2 shown]
	v_add_f64 v[88:89], v[90:91], v[88:89]
	v_fma_f64 v[90:91], v[34:35], s[26:27], -v[102:103]
	v_mul_f64 v[120:121], v[252:253], s[58:59]
	v_mul_f64 v[128:129], v[96:97], s[28:29]
	v_add_f64 v[4:5], v[94:95], v[4:5]
	v_fmac_f64_e32 v[98:99], s[0:1], v[116:117]
	v_add_f64 v[88:89], v[90:91], v[88:89]
	v_fma_f64 v[90:91], v[236:237], s[14:15], -v[120:121]
	v_mul_f64 v[122:123], v[12:13], s[40:41]
	v_add_f64 v[4:5], v[98:99], v[4:5]
	v_fma_f64 v[6:7], v[82:83], s[18:19], -v[128:129]
	v_fmac_f64_e32 v[100:101], s[6:7], v[154:155]
	v_add_f64 v[88:89], v[90:91], v[88:89]
	v_fma_f64 v[90:91], v[64:65], s[38:39], -v[122:123]
	v_add_f64 v[94:95], v[6:7], v[0:1]
	v_fmac_f64_e32 v[102:103], s[26:27], v[34:35]
	v_add_f64 v[0:1], v[100:101], v[4:5]
	v_add_f64 v[88:89], v[90:91], v[88:89]
	v_fma_f64 v[90:91], s[18:19], v[82:83], v[128:129]
	v_fmac_f64_e32 v[120:121], s[14:15], v[236:237]
	v_add_f64 v[0:1], v[102:103], v[0:1]
	v_add_f64 v[86:87], v[90:91], v[2:3]
	v_mul_f64 v[2:3], v[68:69], s[28:29]
	v_fmac_f64_e32 v[122:123], s[38:39], v[64:65]
	v_add_f64 v[0:1], v[120:121], v[0:1]
	v_fma_f64 v[130:131], v[80:81], s[18:19], -v[2:3]
	v_fmac_f64_e32 v[2:3], s[18:19], v[80:81]
	v_add_f64 v[0:1], v[122:123], v[0:1]
	v_mul_f64 v[44:45], v[114:115], s[24:25]
	v_add_f64 v[92:93], v[2:3], v[0:1]
	v_mul_f64 v[42:43], v[238:239], s[36:37]
	v_fma_f64 v[2:3], s[14:15], v[106:107], v[44:45]
	v_mul_f64 v[6:7], v[72:73], s[42:43]
	v_fma_f64 v[0:1], s[26:27], v[112:113], v[42:43]
	v_add_f64 v[2:3], v[242:243], v[2:3]
	v_mul_f64 v[4:5], v[76:77], s[52:53]
	v_add_f64 v[0:1], v[0:1], v[2:3]
	v_fma_f64 v[2:3], s[30:31], v[152:153], v[6:7]
	v_add_f64 v[0:1], v[2:3], v[0:1]
	v_fma_f64 v[2:3], s[38:39], v[30:31], v[4:5]
	v_mul_f64 v[46:47], v[66:67], s[20:21]
	v_add_f64 v[0:1], v[2:3], v[0:1]
	v_fma_f64 v[2:3], s[6:7], v[32:33], v[46:47]
	v_mul_f64 v[50:51], v[48:49], s[44:45]
	;; [unrolled: 3-line block ×4, first 2 shown]
	v_add_f64 v[0:1], v[2:3], v[0:1]
	v_fma_f64 v[2:3], v[104:105], s[14:15], -v[100:101]
	v_mul_f64 v[102:103], v[118:119], s[36:37]
	v_fma_f64 v[44:45], v[106:107], s[14:15], -v[44:45]
	v_add_f64 v[2:3], v[240:241], v[2:3]
	v_fma_f64 v[120:121], v[108:109], s[26:27], -v[102:103]
	v_fma_f64 v[42:43], v[112:113], s[26:27], -v[42:43]
	v_add_f64 v[44:45], v[242:243], v[44:45]
	v_add_f64 v[2:3], v[120:121], v[2:3]
	v_mul_f64 v[120:121], v[28:29], s[42:43]
	v_add_f64 v[42:43], v[42:43], v[44:45]
	v_fma_f64 v[6:7], v[152:153], s[30:31], -v[6:7]
	v_fma_f64 v[122:123], v[116:117], s[30:31], -v[120:121]
	v_add_f64 v[6:7], v[6:7], v[42:43]
	v_fma_f64 v[4:5], v[30:31], s[38:39], -v[4:5]
	v_add_f64 v[2:3], v[122:123], v[2:3]
	v_mul_f64 v[122:123], v[74:75], s[52:53]
	v_add_f64 v[4:5], v[4:5], v[6:7]
	v_fma_f64 v[6:7], v[32:33], s[6:7], -v[46:47]
	v_fma_f64 v[128:129], v[154:155], s[38:39], -v[122:123]
	v_add_f64 v[4:5], v[6:7], v[4:5]
	v_fma_f64 v[6:7], v[250:251], s[34:35], -v[50:51]
	v_add_f64 v[2:3], v[128:129], v[2:3]
	v_mul_f64 v[128:129], v[78:79], s[20:21]
	v_add_f64 v[4:5], v[6:7], v[4:5]
	v_fma_f64 v[6:7], v[254:255], s[18:19], -v[98:99]
	v_fmac_f64_e32 v[100:101], s[14:15], v[104:105]
	v_add_f64 v[84:85], v[130:131], v[88:89]
	v_fma_f64 v[130:131], v[34:35], s[6:7], -v[128:129]
	v_add_f64 v[4:5], v[6:7], v[4:5]
	v_fmac_f64_e32 v[102:103], s[26:27], v[108:109]
	v_add_f64 v[6:7], v[240:241], v[100:101]
	v_accvgpr_write_b32 a213, v87
	v_add_f64 v[2:3], v[130:131], v[2:3]
	v_mul_f64 v[130:131], v[252:253], s[44:45]
	v_add_f64 v[6:7], v[102:103], v[6:7]
	v_fmac_f64_e32 v[120:121], s[30:31], v[116:117]
	v_accvgpr_write_b32 a212, v86
	v_accvgpr_write_b32 a211, v85
	;; [unrolled: 1-line block ×3, first 2 shown]
	v_fma_f64 v[84:85], v[236:237], s[34:35], -v[130:131]
	v_add_f64 v[6:7], v[120:121], v[6:7]
	v_fmac_f64_e32 v[122:123], s[38:39], v[154:155]
	v_add_f64 v[2:3], v[84:85], v[2:3]
	v_mul_f64 v[84:85], v[12:13], s[56:57]
	v_accvgpr_write_b32 a66, v124
	v_add_f64 v[6:7], v[122:123], v[6:7]
	v_fmac_f64_e32 v[128:129], s[6:7], v[34:35]
	v_fma_f64 v[86:87], v[64:65], s[18:19], -v[84:85]
	v_accvgpr_write_b32 a67, v125
	v_accvgpr_write_b32 a68, v126
	;; [unrolled: 1-line block ×3, first 2 shown]
	v_mul_f64 v[124:125], v[96:97], s[54:55]
	v_add_f64 v[6:7], v[128:129], v[6:7]
	v_fmac_f64_e32 v[130:131], s[34:35], v[236:237]
	v_add_f64 v[86:87], v[86:87], v[2:3]
	v_fma_f64 v[2:3], s[0:1], v[82:83], v[124:125]
	v_mul_f64 v[126:127], v[68:69], s[54:55]
	v_add_f64 v[6:7], v[130:131], v[6:7]
	v_fmac_f64_e32 v[84:85], s[18:19], v[64:65]
	v_add_f64 v[2:3], v[2:3], v[0:1]
	v_fma_f64 v[0:1], v[80:81], s[0:1], -v[126:127]
	v_add_f64 v[42:43], v[84:85], v[6:7]
	v_fma_f64 v[6:7], v[82:83], s[0:1], -v[124:125]
	v_fmac_f64_e32 v[126:127], s[0:1], v[80:81]
	v_accvgpr_read_b32 v44, a204
	v_add_f64 v[6:7], v[6:7], v[4:5]
	v_add_f64 v[4:5], v[126:127], v[42:43]
	v_mul_f64 v[42:43], v[96:97], s[44:45]
	v_accvgpr_read_b32 v45, a205
	v_accvgpr_read_b32 v50, a194
	v_add_f64 v[42:43], v[44:45], -v[42:43]
	v_mul_f64 v[44:45], v[70:71], s[24:25]
	v_accvgpr_read_b32 v51, a195
	v_accvgpr_read_b32 v84, a190
	v_add_f64 v[0:1], v[0:1], v[86:87]
	v_add_f64 v[44:45], v[50:51], -v[44:45]
	v_mul_f64 v[50:51], v[48:49], s[40:41]
	v_accvgpr_read_b32 v85, a191
	v_accvgpr_read_b32 v86, a178
	v_add_f64 v[50:51], v[84:85], -v[50:51]
	v_mul_f64 v[84:85], v[66:67], s[54:55]
	v_accvgpr_read_b32 v87, a179
	v_accvgpr_read_b32 v88, a170
	v_add_f64 v[84:85], v[86:87], -v[84:85]
	v_mul_f64 v[86:87], v[76:77], s[42:43]
	v_accvgpr_read_b32 v89, a171
	v_add_f64 v[86:87], v[88:89], -v[86:87]
	v_accvgpr_read_b32 v88, a162
	v_mul_f64 v[98:99], v[72:73], s[48:49]
	v_accvgpr_read_b32 v89, a163
	v_add_f64 v[98:99], v[88:89], -v[98:99]
	v_accvgpr_read_b32 v88, a148
	;; [unrolled: 4-line block ×3, first 2 shown]
	v_mul_f64 v[102:103], v[114:115], s[20:21]
	v_accvgpr_read_b32 v88, a70
	v_add_f64 v[102:103], v[88:89], -v[102:103]
	v_add_f64 v[102:103], v[242:243], v[102:103]
	v_add_f64 v[100:101], v[100:101], v[102:103]
	;; [unrolled: 1-line block ×6, first 2 shown]
	v_accvgpr_read_b32 v88, a198
	v_add_f64 v[44:45], v[44:45], v[50:51]
	v_mul_f64 v[50:51], v[80:81], s[34:35]
	v_accvgpr_read_b32 v89, a199
	v_add_f64 v[50:51], v[50:51], v[88:89]
	v_accvgpr_read_b32 v88, a180
	v_mul_f64 v[100:101], v[64:65], s[14:15]
	v_accvgpr_read_b32 v89, a181
	v_add_f64 v[100:101], v[100:101], v[88:89]
	v_accvgpr_read_b32 v88, a176
	;; [unrolled: 4-line block ×7, first 2 shown]
	v_mul_f64 v[102:103], v[104:105], s[6:7]
	v_accvgpr_read_b32 v88, a74
	v_add_f64 v[102:103], v[102:103], v[88:89]
	v_add_f64 v[102:103], v[240:241], v[102:103]
	;; [unrolled: 1-line block ×8, first 2 shown]
	v_accvgpr_read_b32 v88, a168
	v_add_f64 v[44:45], v[42:43], v[44:45]
	v_add_f64 v[42:43], v[50:51], v[86:87]
	v_mul_f64 v[86:87], v[96:97], s[52:53]
	v_accvgpr_read_b32 v89, a169
	v_add_f64 v[86:87], v[88:89], -v[86:87]
	v_accvgpr_read_b32 v88, a164
	v_mul_f64 v[100:101], v[70:71], s[50:51]
	v_accvgpr_read_b32 v89, a165
	v_add_f64 v[100:101], v[88:89], -v[100:101]
	v_accvgpr_read_b32 v88, a150
	v_accvgpr_write_b32 a74, v136
	v_mul_f64 v[126:127], v[48:49], s[42:43]
	v_accvgpr_read_b32 v89, a151
	v_accvgpr_write_b32 a75, v137
	v_accvgpr_write_b32 a76, v138
	;; [unrolled: 1-line block ×3, first 2 shown]
	v_add_f64 v[126:127], v[88:89], -v[126:127]
	v_accvgpr_read_b32 v88, a140
	v_accvgpr_read_b32 v139, a107
	v_mul_f64 v[98:99], v[238:239], s[24:25]
	v_mul_f64 v[130:131], v[66:67], s[46:47]
	v_accvgpr_read_b32 v89, a141
	v_accvgpr_read_b32 v138, a106
	v_add_f64 v[130:131], v[88:89], -v[130:131]
	v_accvgpr_read_b32 v88, a192
	v_add_f64 v[98:99], v[138:139], -v[98:99]
	v_accvgpr_read_b32 v139, a87
	v_mul_f64 v[120:121], v[114:115], s[16:17]
	v_mul_f64 v[136:137], v[76:77], s[36:37]
	v_accvgpr_read_b32 v89, a193
	v_accvgpr_read_b32 v138, a86
	v_accvgpr_write_b32 a112, v132
	v_add_f64 v[136:137], v[88:89], -v[136:137]
	v_accvgpr_read_b32 v88, a110
	v_add_f64 v[120:121], v[138:139], -v[120:121]
	v_accvgpr_write_b32 a113, v133
	v_accvgpr_write_b32 a114, v134
	;; [unrolled: 1-line block ×3, first 2 shown]
	v_mul_f64 v[132:133], v[72:73], s[28:29]
	v_accvgpr_read_b32 v89, a111
	v_add_f64 v[120:121], v[242:243], v[120:121]
	v_add_f64 v[132:133], v[88:89], -v[132:133]
	v_add_f64 v[98:99], v[98:99], v[120:121]
	v_add_f64 v[98:99], v[132:133], v[98:99]
	;; [unrolled: 1-line block ×6, first 2 shown]
	v_accvgpr_read_b32 v88, a142
	v_mul_f64 v[128:129], v[236:237], s[30:31]
	v_add_f64 v[100:101], v[86:87], v[98:99]
	v_accvgpr_read_b32 v86, a184
	v_accvgpr_read_b32 v89, a143
	v_mul_f64 v[50:51], v[80:81], s[38:39]
	v_accvgpr_read_b32 v87, a185
	v_add_f64 v[98:99], v[128:129], v[88:89]
	v_accvgpr_read_b32 v88, a120
	v_mul_f64 v[102:103], v[34:35], s[34:35]
	v_add_f64 v[50:51], v[50:51], v[86:87]
	v_accvgpr_read_b32 v86, a152
	v_accvgpr_read_b32 v89, a121
	v_mul_f64 v[124:125], v[64:65], s[6:7]
	v_accvgpr_read_b32 v87, a153
	v_add_f64 v[102:103], v[102:103], v[88:89]
	v_accvgpr_read_b32 v88, a196
	v_mul_f64 v[134:135], v[154:155], s[26:27]
	v_add_f64 v[86:87], v[124:125], v[86:87]
	v_accvgpr_read_b32 v89, a197
	v_accvgpr_read_b32 v125, a109
	v_mul_f64 v[84:85], v[116:117], s[18:19]
	v_add_f64 v[120:121], v[134:135], v[88:89]
	v_accvgpr_read_b32 v124, a108
	;; [unrolled: 4-line block ×3, first 2 shown]
	v_accvgpr_read_b32 v89, a183
	v_mul_f64 v[122:123], v[108:109], s[14:15]
	v_accvgpr_read_b32 v124, a88
	v_add_f64 v[46:47], v[46:47], v[88:89]
	v_add_f64 v[122:123], v[122:123], v[124:125]
	;; [unrolled: 1-line block ×8, first 2 shown]
	v_mul_f64 v[76:77], v[76:77], s[24:25]
	v_mul_f64 v[114:115], v[114:115], s[40:41]
	v_add_f64 v[46:47], v[86:87], v[46:47]
	v_mul_f64 v[66:67], v[66:67], s[2:3]
	v_fma_f64 v[102:103], s[14:15], v[30:31], v[76:77]
	v_mul_f64 v[72:73], v[72:73], s[20:21]
	v_mul_f64 v[122:123], v[238:239], s[16:17]
	v_fma_f64 v[30:31], v[30:31], s[14:15], -v[76:77]
	v_fma_f64 v[76:77], v[106:107], s[38:39], -v[114:115]
	v_add_f64 v[98:99], v[50:51], v[46:47]
	v_mul_f64 v[50:51], v[96:97], s[36:37]
	v_fma_f64 v[96:97], s[30:31], v[32:33], v[66:67]
	v_fma_f64 v[120:121], s[6:7], v[152:153], v[72:73]
	v_fma_f64 v[32:33], v[32:33], s[30:31], -v[66:67]
	v_fma_f64 v[66:67], v[152:153], s[6:7], -v[72:73]
	;; [unrolled: 1-line block ×3, first 2 shown]
	v_add_f64 v[76:77], v[242:243], v[76:77]
	v_fma_f64 v[126:127], s[38:39], v[106:107], v[114:115]
	v_add_f64 v[72:73], v[72:73], v[76:77]
	v_fma_f64 v[124:125], s[0:1], v[112:113], v[122:123]
	v_add_f64 v[126:127], v[242:243], v[126:127]
	v_mul_f64 v[110:111], v[110:111], s[40:41]
	v_add_f64 v[66:67], v[66:67], v[72:73]
	v_add_f64 v[124:125], v[124:125], v[126:127]
	v_mul_f64 v[118:119], v[118:119], s[16:17]
	v_fma_f64 v[130:131], v[104:105], s[38:39], -v[110:111]
	v_add_f64 v[30:31], v[30:31], v[66:67]
	v_fmac_f64_e32 v[110:111], s[38:39], v[104:105]
	v_add_f64 v[120:121], v[120:121], v[124:125]
	v_mul_f64 v[28:29], v[28:29], s[20:21]
	v_fma_f64 v[128:129], v[108:109], s[0:1], -v[118:119]
	v_add_f64 v[30:31], v[32:33], v[30:31]
	v_fmac_f64_e32 v[118:119], s[0:1], v[108:109]
	v_add_f64 v[32:33], v[240:241], v[110:111]
	v_mul_f64 v[86:87], v[48:49], s[28:29]
	v_add_f64 v[102:103], v[102:103], v[120:121]
	v_mul_f64 v[74:75], v[74:75], s[24:25]
	v_fma_f64 v[126:127], v[116:117], s[6:7], -v[28:29]
	v_fmac_f64_e32 v[28:29], s[6:7], v[116:117]
	v_add_f64 v[32:33], v[118:119], v[32:33]
	v_fma_f64 v[48:49], s[18:19], v[250:251], v[86:87]
	v_add_f64 v[96:97], v[96:97], v[102:103]
	v_mul_f64 v[78:79], v[78:79], s[2:3]
	v_fma_f64 v[124:125], v[154:155], s[14:15], -v[74:75]
	v_fmac_f64_e32 v[74:75], s[14:15], v[154:155]
	v_add_f64 v[28:29], v[28:29], v[32:33]
	v_mul_f64 v[70:71], v[70:71], s[44:45]
	v_add_f64 v[48:49], v[48:49], v[96:97]
	v_mul_f64 v[96:97], v[252:253], s[28:29]
	v_fma_f64 v[120:121], v[34:35], s[30:31], -v[78:79]
	v_fmac_f64_e32 v[78:79], s[30:31], v[34:35]
	v_add_f64 v[28:29], v[74:75], v[28:29]
	v_fma_f64 v[84:85], s[34:35], v[254:255], v[70:71]
	v_mul_f64 v[12:13], v[12:13], s[44:45]
	v_fma_f64 v[102:103], v[236:237], s[18:19], -v[96:97]
	v_fmac_f64_e32 v[96:97], s[18:19], v[236:237]
	v_add_f64 v[28:29], v[78:79], v[28:29]
	v_fma_f64 v[46:47], s[26:27], v[82:83], v[50:51]
	v_add_f64 v[48:49], v[84:85], v[48:49]
	v_mul_f64 v[68:69], v[68:69], s[36:37]
	v_fma_f64 v[84:85], v[64:65], s[34:35], -v[12:13]
	v_fmac_f64_e32 v[12:13], s[34:35], v[64:65]
	v_add_f64 v[28:29], v[96:97], v[28:29]
	v_add_f64 v[48:49], v[46:47], v[48:49]
	v_fma_f64 v[46:47], v[80:81], s[26:27], -v[68:69]
	v_fmac_f64_e32 v[68:69], s[26:27], v[80:81]
	v_add_f64 v[12:13], v[12:13], v[28:29]
	v_add_f64 v[28:29], v[68:69], v[12:13]
	v_accvgpr_read_b32 v12, a158
	v_accvgpr_read_b32 v13, a159
	v_accvgpr_read_b32 v32, a160
	v_add_f64 v[12:13], v[242:243], v[12:13]
	v_accvgpr_read_b32 v33, a161
	v_add_f64 v[12:13], v[12:13], v[32:33]
	v_accvgpr_read_b32 v32, a78
	v_accvgpr_read_b32 v33, a79
	v_add_f64 v[12:13], v[12:13], v[32:33]
	v_accvgpr_read_b32 v32, a80
	;; [unrolled: 3-line block ×14, first 2 shown]
	v_accvgpr_read_b32 v33, a127
	v_add_f64 v[12:13], v[12:13], v[32:33]
	v_add_f64 v[32:33], v[240:241], v[54:55]
	;; [unrolled: 1-line block ×20, first 2 shown]
	v_accvgpr_read_b32 v8, a30
	v_add_f64 v[124:125], v[124:125], v[126:127]
	v_lshrrev_b32_e32 v8, 1, v8
	v_add_f64 v[120:121], v[120:121], v[124:125]
	v_fma_f64 v[50:51], v[82:83], s[26:27], -v[50:51]
	v_fma_f64 v[82:83], v[250:251], s[18:19], -v[86:87]
	v_mul_u32_u24_e32 v8, 34, v8
	v_accvgpr_read_b32 v9, a57
	v_accvgpr_read_b32 v139, a77
	;; [unrolled: 1-line block ×3, first 2 shown]
	v_add_f64 v[102:103], v[102:103], v[120:121]
	v_fma_f64 v[70:71], v[254:255], s[34:35], -v[70:71]
	v_accvgpr_read_b32 v123, a65
	v_add_f64 v[30:31], v[82:83], v[30:31]
	v_or_b32_e32 v8, v8, v9
	v_accvgpr_read_b32 v138, a76
	v_accvgpr_read_b32 v137, a75
	;; [unrolled: 1-line block ×6, first 2 shown]
	v_add_f64 v[84:85], v[84:85], v[102:103]
	v_accvgpr_read_b32 v122, a64
	v_accvgpr_read_b32 v121, a63
	;; [unrolled: 1-line block ×3, first 2 shown]
	v_add_f64 v[30:31], v[70:71], v[30:31]
	v_lshl_add_u32 v8, v8, 4, v52
	v_add_f64 v[46:47], v[46:47], v[84:85]
	v_add_f64 v[30:31], v[50:51], v[30:31]
	ds_write_b128 v8, v[10:13]
	ds_write_b128 v8, v[28:31] offset:32
	ds_write_b128 v8, v[98:101] offset:64
	;; [unrolled: 1-line block ×16, first 2 shown]
.LBB0_25:
	s_or_b64 exec, exec, s[22:23]
	s_waitcnt lgkmcnt(0)
	s_barrier
	ds_read_b128 v[24:27], v53
	ds_read_b128 v[20:23], v53 offset:1088
	ds_read_b128 v[64:67], v53 offset:9248
	ds_read_b128 v[44:47], v53 offset:10336
	ds_read_b128 v[16:19], v53 offset:2176
	ds_read_b128 v[12:15], v53 offset:3264
	ds_read_b128 v[40:43], v53 offset:11424
	ds_read_b128 v[32:35], v53 offset:12512
	ds_read_b128 v[8:11], v53 offset:4352
	ds_read_b128 v[4:7], v53 offset:5440
	ds_read_b128 v[68:71], v53 offset:8160
	ds_read_b128 v[0:3], v53 offset:6528
	ds_read_b128 v[36:39], v53 offset:13600
	ds_read_b128 v[28:31], v53 offset:14688
	s_and_saveexec_b64 s[0:1], s[4:5]
	s_cbranch_execz .LBB0_27
; %bb.26:
	ds_read_b128 v[56:59], v53 offset:7616
	ds_read_b128 v[60:63], v53 offset:15776
.LBB0_27:
	s_or_b64 exec, exec, s[0:1]
	s_waitcnt lgkmcnt(3)
	v_mul_f64 v[50:51], v[122:123], v[70:71]
	v_fmac_f64_e32 v[50:51], v[120:121], v[68:69]
	v_mul_f64 v[54:55], v[122:123], v[68:69]
	v_mul_f64 v[68:69], v[126:127], v[66:67]
	v_fmac_f64_e32 v[68:69], v[124:125], v[64:65]
	v_mul_f64 v[64:65], v[126:127], v[64:65]
	v_fma_f64 v[54:55], v[120:121], v[70:71], -v[54:55]
	v_fma_f64 v[64:65], v[124:125], v[66:67], -v[64:65]
	v_mul_f64 v[66:67], v[138:139], v[46:47]
	v_accvgpr_read_b32 v70, a90
	v_fmac_f64_e32 v[66:67], v[136:137], v[44:45]
	v_mul_f64 v[44:45], v[138:139], v[44:45]
	v_accvgpr_read_b32 v72, a92
	v_accvgpr_read_b32 v73, a93
	v_fma_f64 v[44:45], v[136:137], v[46:47], -v[44:45]
	v_accvgpr_read_b32 v71, a91
	v_mul_f64 v[46:47], v[72:73], v[42:43]
	v_fmac_f64_e32 v[46:47], v[70:71], v[40:41]
	v_mul_f64 v[40:41], v[72:73], v[40:41]
	v_fma_f64 v[42:43], v[70:71], v[42:43], -v[40:41]
	v_mul_f64 v[70:71], v[142:143], v[34:35]
	s_waitcnt lgkmcnt(0)
	v_mul_f64 v[78:79], v[150:151], v[30:31]
	v_fmac_f64_e32 v[70:71], v[140:141], v[32:33]
	v_mul_f64 v[32:33], v[142:143], v[32:33]
	v_fmac_f64_e32 v[78:79], v[148:149], v[28:29]
	v_mul_f64 v[28:29], v[150:151], v[28:29]
	v_fma_f64 v[72:73], v[140:141], v[34:35], -v[32:33]
	v_mul_f64 v[32:33], v[146:147], v[36:37]
	v_fma_f64 v[80:81], v[148:149], v[30:31], -v[28:29]
	v_add_f64 v[28:29], v[24:25], -v[50:51]
	v_add_f64 v[30:31], v[26:27], -v[54:55]
	v_mul_f64 v[74:75], v[146:147], v[38:39]
	v_fma_f64 v[76:77], v[144:145], v[38:39], -v[32:33]
	v_fma_f64 v[24:25], v[24:25], 2.0, -v[28:29]
	v_fma_f64 v[26:27], v[26:27], 2.0, -v[30:31]
	v_add_f64 v[32:33], v[20:21], -v[68:69]
	v_add_f64 v[34:35], v[22:23], -v[64:65]
	v_accvgpr_read_b32 v50, a94
	v_fmac_f64_e32 v[74:75], v[144:145], v[36:37]
	v_fma_f64 v[20:21], v[20:21], 2.0, -v[32:33]
	v_fma_f64 v[22:23], v[22:23], 2.0, -v[34:35]
	v_add_f64 v[36:37], v[16:17], -v[66:67]
	v_add_f64 v[38:39], v[18:19], -v[44:45]
	s_barrier
	ds_write_b128 v50, v[24:27]
	ds_write_b128 v50, v[28:31] offset:544
	v_accvgpr_read_b32 v24, a95
	v_fma_f64 v[16:17], v[16:17], 2.0, -v[36:37]
	v_fma_f64 v[18:19], v[18:19], 2.0, -v[38:39]
	v_add_f64 v[40:41], v[12:13], -v[46:47]
	v_add_f64 v[42:43], v[14:15], -v[42:43]
	ds_write_b128 v24, v[20:23]
	ds_write_b128 v24, v[32:35] offset:544
	v_accvgpr_read_b32 v20, a96
	v_fma_f64 v[12:13], v[12:13], 2.0, -v[40:41]
	v_fma_f64 v[14:15], v[14:15], 2.0, -v[42:43]
	v_add_f64 v[44:45], v[8:9], -v[70:71]
	v_add_f64 v[46:47], v[10:11], -v[72:73]
	;; [unrolled: 7-line block ×4, first 2 shown]
	ds_write_b128 v12, v[8:11]
	ds_write_b128 v12, v[44:47] offset:544
	v_accvgpr_read_b32 v8, a99
	v_add_u32_e32 v49, 0x440, v53
	v_add_u32_e32 v48, 0x880, v53
	v_fma_f64 v[0:1], v[0:1], 2.0, -v[68:69]
	v_fma_f64 v[2:3], v[2:3], 2.0, -v[70:71]
	ds_write_b128 v8, v[4:7]
	ds_write_b128 v8, v[64:67] offset:544
	v_accvgpr_read_b32 v4, a100
	ds_write_b128 v4, v[0:3]
	ds_write_b128 v4, v[68:71] offset:544
	s_and_saveexec_b64 s[0:1], s[4:5]
	s_cbranch_execz .LBB0_29
; %bb.28:
	v_accvgpr_read_b32 v8, a116
	v_accvgpr_read_b32 v10, a118
	;; [unrolled: 1-line block ×4, first 2 shown]
	v_mul_f64 v[0:1], v[10:11], v[60:61]
	v_fma_f64 v[0:1], v[8:9], v[62:63], -v[0:1]
	v_add_f64 v[2:3], v[58:59], -v[0:1]
	v_mul_f64 v[0:1], v[10:11], v[62:63]
	v_fmac_f64_e32 v[0:1], v[8:9], v[60:61]
	v_add_f64 v[0:1], v[56:57], -v[0:1]
	v_fma_f64 v[6:7], v[58:59], 2.0, -v[2:3]
	v_fma_f64 v[4:5], v[56:57], 2.0, -v[0:1]
	v_accvgpr_read_b32 v8, a31
	ds_write_b128 v8, v[4:7] offset:15232
	ds_write_b128 v8, v[0:3] offset:15776
.LBB0_29:
	s_or_b64 exec, exec, s[0:1]
	s_waitcnt lgkmcnt(0)
	s_barrier
	ds_read_b128 v[0:3], v53
	ds_read_b128 v[4:7], v53 offset:1088
	ds_read_b128 v[26:29], v53 offset:10880
	ds_read_b128 v[30:33], v53 offset:11968
	ds_read_b128 v[34:37], v53 offset:6528
	ds_read_b128 v[38:41], v53 offset:7616
	ds_read_b128 v[8:11], v53 offset:2176
	ds_read_b128 v[12:15], v53 offset:3264
	ds_read_b128 v[42:45], v53 offset:13056
	ds_read_b128 v[54:57], v53 offset:14144
	ds_read_b128 v[58:61], v53 offset:5440
	ds_read_b128 v[16:19], v53 offset:4352
	ds_read_b128 v[62:65], v53 offset:8704
	ds_read_b128 v[66:69], v53 offset:9792
	ds_read_b128 v[70:73], v53 offset:15232
	s_waitcnt lgkmcnt(4)
	v_mul_f64 v[46:47], v[162:163], v[60:61]
	v_fmac_f64_e32 v[46:47], v[160:161], v[58:59]
	v_mul_f64 v[50:51], v[162:163], v[58:59]
	v_mul_f64 v[58:59], v[158:159], v[28:29]
	v_fmac_f64_e32 v[58:59], v[156:157], v[26:27]
	v_mul_f64 v[26:27], v[158:159], v[26:27]
	v_fma_f64 v[50:51], v[160:161], v[60:61], -v[50:51]
	v_fma_f64 v[60:61], v[156:157], v[28:29], -v[26:27]
	v_mul_f64 v[26:27], v[162:163], v[34:35]
	v_fma_f64 v[76:77], v[160:161], v[36:37], -v[26:27]
	v_mul_f64 v[26:27], v[158:159], v[30:31]
	;; [unrolled: 2-line block ×4, first 2 shown]
	v_fma_f64 v[88:89], v[180:181], v[44:45], -v[26:27]
	s_waitcnt lgkmcnt(2)
	v_mul_f64 v[26:27], v[170:171], v[62:63]
	v_accvgpr_read_b32 v52, a56
	v_mul_f64 v[90:91], v[170:171], v[64:65]
	v_fma_f64 v[64:65], v[168:169], v[64:65], -v[26:27]
	v_mul_f64 v[26:27], v[166:167], v[54:55]
	v_mad_u64_u32 v[22:23], s[0:1], s10, v52, 0
	v_fma_f64 v[94:95], v[164:165], v[56:57], -v[26:27]
	s_waitcnt lgkmcnt(1)
	v_mul_f64 v[26:27], v[178:179], v[66:67]
	v_mul_f64 v[74:75], v[162:163], v[36:37]
	;; [unrolled: 1-line block ×3, first 2 shown]
	v_fma_f64 v[98:99], v[176:177], v[68:69], -v[26:27]
	s_waitcnt lgkmcnt(0)
	v_mul_f64 v[26:27], v[174:175], v[70:71]
	v_add_f64 v[28:29], v[46:47], v[58:59]
	s_mov_b32 s0, 0xe8584caa
	v_fmac_f64_e32 v[74:75], v[160:161], v[34:35]
	v_fmac_f64_e32 v[78:79], v[156:157], v[30:31]
	v_mul_f64 v[100:101], v[174:175], v[72:73]
	v_fma_f64 v[72:73], v[172:173], v[72:73], -v[26:27]
	v_add_f64 v[26:27], v[0:1], v[46:47]
	v_fmac_f64_e32 v[0:1], -0.5, v[28:29]
	v_add_f64 v[28:29], v[50:51], -v[60:61]
	s_mov_b32 s1, 0xbfebb67a
	s_mov_b32 s3, 0x3febb67a
	s_mov_b32 s2, s0
	v_add_f64 v[32:33], v[50:51], v[60:61]
	v_mul_f64 v[82:83], v[186:187], v[40:41]
	v_mul_f64 v[86:87], v[182:183], v[44:45]
	v_fma_f64 v[30:31], s[0:1], v[28:29], v[0:1]
	v_fmac_f64_e32 v[0:1], s[2:3], v[28:29]
	v_add_f64 v[28:29], v[2:3], v[50:51]
	v_fmac_f64_e32 v[2:3], -0.5, v[32:33]
	v_add_f64 v[34:35], v[46:47], -v[58:59]
	v_add_f64 v[36:37], v[74:75], v[78:79]
	v_fmac_f64_e32 v[82:83], v[184:185], v[38:39]
	v_fmac_f64_e32 v[86:87], v[180:181], v[42:43]
	v_fma_f64 v[32:33], s[2:3], v[34:35], v[2:3]
	v_fmac_f64_e32 v[2:3], s[0:1], v[34:35]
	v_add_f64 v[34:35], v[4:5], v[74:75]
	v_fmac_f64_e32 v[4:5], -0.5, v[36:37]
	v_add_f64 v[36:37], v[76:77], -v[80:81]
	v_add_f64 v[40:41], v[76:77], v[80:81]
	v_fma_f64 v[38:39], s[0:1], v[36:37], v[4:5]
	v_fmac_f64_e32 v[4:5], s[2:3], v[36:37]
	v_add_f64 v[36:37], v[6:7], v[76:77]
	v_fmac_f64_e32 v[6:7], -0.5, v[40:41]
	v_add_f64 v[42:43], v[74:75], -v[78:79]
	v_add_f64 v[44:45], v[82:83], v[86:87]
	v_mul_f64 v[92:93], v[166:167], v[56:57]
	v_fma_f64 v[40:41], s[2:3], v[42:43], v[6:7]
	v_fmac_f64_e32 v[6:7], s[0:1], v[42:43]
	v_add_f64 v[42:43], v[8:9], v[82:83]
	v_fmac_f64_e32 v[8:9], -0.5, v[44:45]
	v_add_f64 v[44:45], v[84:85], -v[88:89]
	v_add_f64 v[46:47], v[84:85], v[88:89]
	v_fmac_f64_e32 v[90:91], v[168:169], v[62:63]
	v_fmac_f64_e32 v[92:93], v[164:165], v[54:55]
	v_fma_f64 v[54:55], s[0:1], v[44:45], v[8:9]
	v_fmac_f64_e32 v[8:9], s[2:3], v[44:45]
	v_add_f64 v[44:45], v[10:11], v[84:85]
	v_fmac_f64_e32 v[10:11], -0.5, v[46:47]
	v_add_f64 v[46:47], v[82:83], -v[86:87]
	v_fma_f64 v[56:57], s[2:3], v[46:47], v[10:11]
	v_fmac_f64_e32 v[10:11], s[0:1], v[46:47]
	v_add_f64 v[46:47], v[12:13], v[90:91]
	v_add_f64 v[26:27], v[26:27], v[58:59]
	;; [unrolled: 1-line block ×4, first 2 shown]
	v_fmac_f64_e32 v[12:13], -0.5, v[46:47]
	v_add_f64 v[46:47], v[64:65], -v[94:95]
	v_fma_f64 v[62:63], s[0:1], v[46:47], v[12:13]
	v_fmac_f64_e32 v[12:13], s[2:3], v[46:47]
	v_add_f64 v[46:47], v[14:15], v[64:65]
	v_mul_f64 v[96:97], v[178:179], v[68:69]
	v_add_f64 v[28:29], v[28:29], v[60:61]
	v_add_f64 v[60:61], v[46:47], v[94:95]
	;; [unrolled: 1-line block ×3, first 2 shown]
	v_fmac_f64_e32 v[96:97], v[176:177], v[66:67]
	v_fmac_f64_e32 v[14:15], -0.5, v[46:47]
	v_add_f64 v[46:47], v[90:91], -v[92:93]
	v_fmac_f64_e32 v[100:101], v[172:173], v[70:71]
	v_fma_f64 v[64:65], s[2:3], v[46:47], v[14:15]
	v_fmac_f64_e32 v[14:15], s[0:1], v[46:47]
	v_add_f64 v[46:47], v[16:17], v[96:97]
	v_add_f64 v[66:67], v[46:47], v[100:101]
	;; [unrolled: 1-line block ×3, first 2 shown]
	v_fmac_f64_e32 v[16:17], -0.5, v[46:47]
	v_add_f64 v[46:47], v[98:99], -v[72:73]
	v_fma_f64 v[70:71], s[0:1], v[46:47], v[16:17]
	v_fmac_f64_e32 v[16:17], s[2:3], v[46:47]
	v_add_f64 v[46:47], v[18:19], v[98:99]
	v_add_f64 v[34:35], v[34:35], v[78:79]
	;; [unrolled: 1-line block ×7, first 2 shown]
	s_barrier
	ds_write_b128 v53, v[26:29]
	ds_write_b128 v53, v[30:33] offset:1088
	ds_write_b128 v53, v[0:3] offset:2176
	ds_write_b128 v53, v[34:37] offset:3264
	ds_write_b128 v53, v[38:41] offset:4352
	ds_write_b128 v53, v[4:7] offset:5440
	v_accvgpr_read_b32 v0, a101
	v_fmac_f64_e32 v[18:19], -0.5, v[46:47]
	v_add_f64 v[46:47], v[96:97], -v[100:101]
	ds_write_b128 v0, v[42:45] offset:6528
	ds_write_b128 v0, v[54:57] offset:7616
	;; [unrolled: 1-line block ×3, first 2 shown]
	v_accvgpr_read_b32 v0, a102
	v_fma_f64 v[72:73], s[2:3], v[46:47], v[18:19]
	v_fmac_f64_e32 v[18:19], s[0:1], v[46:47]
	ds_write_b128 v0, v[58:61] offset:9792
	ds_write_b128 v0, v[62:65] offset:10880
	;; [unrolled: 1-line block ×3, first 2 shown]
	v_accvgpr_read_b32 v0, a103
	ds_write_b128 v0, v[66:69] offset:13056
	ds_write_b128 v0, v[70:73] offset:14144
	;; [unrolled: 1-line block ×3, first 2 shown]
	s_waitcnt lgkmcnt(0)
	s_barrier
	ds_read_b128 v[56:59], v53
	ds_read_b128 v[60:63], v53 offset:1088
	ds_read_b128 v[0:3], v53 offset:6528
	;; [unrolled: 1-line block ×14, first 2 shown]
	s_waitcnt lgkmcnt(12)
	v_mul_f64 v[76:77], v[198:199], v[2:3]
	v_fmac_f64_e32 v[76:77], v[196:197], v[0:1]
	v_mul_f64 v[0:1], v[198:199], v[0:1]
	v_fma_f64 v[78:79], v[196:197], v[2:3], -v[0:1]
	s_waitcnt lgkmcnt(4)
	v_mul_f64 v[0:1], v[194:195], v[36:37]
	v_mul_f64 v[80:81], v[194:195], v[38:39]
	v_fma_f64 v[38:39], v[192:193], v[38:39], -v[0:1]
	v_mul_f64 v[0:1], v[190:191], v[8:9]
	v_fma_f64 v[84:85], v[188:189], v[10:11], -v[0:1]
	;; [unrolled: 2-line block ×4, first 2 shown]
	s_waitcnt lgkmcnt(2)
	v_mul_f64 v[0:1], v[210:211], v[44:45]
	v_mul_f64 v[50:51], v[202:203], v[18:19]
	;; [unrolled: 1-line block ×3, first 2 shown]
	v_fma_f64 v[46:47], v[208:209], v[46:47], -v[0:1]
	v_mul_f64 v[0:1], v[206:207], v[12:13]
	v_fmac_f64_e32 v[50:51], v[200:201], v[16:17]
	v_mul_f64 v[16:17], v[202:203], v[16:17]
	v_fma_f64 v[98:99], v[204:205], v[14:15], -v[0:1]
	v_mul_f64 v[0:1], v[234:235], v[32:33]
	v_fma_f64 v[54:55], v[200:201], v[18:19], -v[16:17]
	v_fma_f64 v[16:17], v[232:233], v[34:35], -v[0:1]
	v_mul_f64 v[0:1], v[230:231], v[40:41]
	v_mul_f64 v[86:87], v[218:219], v[28:29]
	v_fma_f64 v[18:19], v[228:229], v[42:43], -v[0:1]
	s_waitcnt lgkmcnt(1)
	v_mul_f64 v[0:1], v[226:227], v[68:69]
	v_fmac_f64_e32 v[86:87], v[216:217], v[26:27]
	v_fma_f64 v[26:27], v[224:225], v[70:71], -v[0:1]
	s_waitcnt lgkmcnt(0)
	v_mul_f64 v[0:1], v[222:223], v[72:73]
	v_fma_f64 v[28:29], v[220:221], v[74:75], -v[0:1]
	v_add_f64 v[0:1], v[56:57], v[50:51]
	v_fmac_f64_e32 v[80:81], v[192:193], v[36:37]
	v_mul_f64 v[82:83], v[190:191], v[10:11]
	v_add_f64 v[0:1], v[0:1], v[76:77]
	v_fmac_f64_e32 v[82:83], v[188:189], v[8:9]
	v_mul_f64 v[90:91], v[214:215], v[6:7]
	v_add_f64 v[0:1], v[0:1], v[80:81]
	v_fmac_f64_e32 v[90:91], v[212:213], v[4:5]
	v_add_f64 v[4:5], v[0:1], v[82:83]
	v_add_f64 v[0:1], v[76:77], v[80:81]
	s_mov_b32 s2, 0x134454ff
	v_mov_b32_e32 v20, s12
	v_mov_b32_e32 v21, s13
	v_mul_f64 v[96:97], v[206:207], v[14:15]
	v_fma_f64 v[0:1], -0.5, v[0:1], v[56:57]
	v_add_f64 v[2:3], v[54:55], -v[84:85]
	s_mov_b32 s3, 0xbfee6f0e
	s_mov_b32 s0, 0x4755a5e
	s_mov_b32 s13, 0x3fee6f0e
	s_mov_b32 s12, s2
	v_fmac_f64_e32 v[96:97], v[204:205], v[12:13]
	v_fma_f64 v[8:9], s[2:3], v[2:3], v[0:1]
	v_add_f64 v[6:7], v[78:79], -v[38:39]
	s_mov_b32 s1, 0xbfe2cf23
	v_add_f64 v[10:11], v[50:51], -v[76:77]
	v_add_f64 v[12:13], v[82:83], -v[80:81]
	s_mov_b32 s6, 0x372fe950
	v_fmac_f64_e32 v[0:1], s[12:13], v[2:3]
	s_mov_b32 s15, 0x3fe2cf23
	s_mov_b32 s14, s0
	v_fmac_f64_e32 v[8:9], s[0:1], v[6:7]
	v_add_f64 v[10:11], v[10:11], v[12:13]
	s_mov_b32 s7, 0x3fd3c6ef
	v_fmac_f64_e32 v[0:1], s[14:15], v[6:7]
	v_fmac_f64_e32 v[8:9], s[6:7], v[10:11]
	;; [unrolled: 1-line block ×3, first 2 shown]
	v_add_f64 v[10:11], v[50:51], v[82:83]
	v_fmac_f64_e32 v[56:57], -0.5, v[10:11]
	v_fma_f64 v[12:13], s[12:13], v[6:7], v[56:57]
	v_fmac_f64_e32 v[56:57], s[2:3], v[6:7]
	v_fmac_f64_e32 v[12:13], s[0:1], v[2:3]
	;; [unrolled: 1-line block ×3, first 2 shown]
	v_add_f64 v[2:3], v[58:59], v[54:55]
	v_add_f64 v[2:3], v[2:3], v[78:79]
	v_mul_f64 v[30:31], v[234:235], v[34:35]
	v_add_f64 v[2:3], v[2:3], v[38:39]
	v_fmac_f64_e32 v[30:31], v[232:233], v[32:33]
	v_mul_f64 v[32:33], v[230:231], v[42:43]
	v_add_f64 v[10:11], v[76:77], -v[50:51]
	v_add_f64 v[14:15], v[80:81], -v[82:83]
	v_add_f64 v[6:7], v[2:3], v[84:85]
	v_add_f64 v[2:3], v[78:79], v[38:39]
	v_fmac_f64_e32 v[32:33], v[228:229], v[40:41]
	v_add_f64 v[10:11], v[10:11], v[14:15]
	v_fma_f64 v[2:3], -0.5, v[2:3], v[58:59]
	v_add_f64 v[40:41], v[50:51], -v[82:83]
	v_fmac_f64_e32 v[94:95], v[208:209], v[44:45]
	v_fmac_f64_e32 v[12:13], s[6:7], v[10:11]
	;; [unrolled: 1-line block ×3, first 2 shown]
	v_fma_f64 v[10:11], s[12:13], v[40:41], v[2:3]
	v_add_f64 v[42:43], v[76:77], -v[80:81]
	v_add_f64 v[14:15], v[54:55], -v[78:79]
	;; [unrolled: 1-line block ×3, first 2 shown]
	v_fmac_f64_e32 v[2:3], s[2:3], v[40:41]
	v_fmac_f64_e32 v[10:11], s[14:15], v[42:43]
	v_add_f64 v[14:15], v[14:15], v[44:45]
	v_fmac_f64_e32 v[2:3], s[0:1], v[42:43]
	v_fmac_f64_e32 v[10:11], s[6:7], v[14:15]
	;; [unrolled: 1-line block ×3, first 2 shown]
	v_add_f64 v[14:15], v[54:55], v[84:85]
	v_fmac_f64_e32 v[58:59], -0.5, v[14:15]
	v_fma_f64 v[14:15], s[2:3], v[42:43], v[58:59]
	v_fmac_f64_e32 v[58:59], s[12:13], v[42:43]
	v_fmac_f64_e32 v[14:15], s[14:15], v[40:41]
	;; [unrolled: 1-line block ×3, first 2 shown]
	v_add_f64 v[40:41], v[90:91], v[94:95]
	v_mul_f64 v[34:35], v[226:227], v[70:71]
	v_add_f64 v[44:45], v[78:79], -v[54:55]
	v_add_f64 v[38:39], v[38:39], -v[84:85]
	v_fma_f64 v[42:43], -0.5, v[40:41], v[60:61]
	v_add_f64 v[40:41], v[88:89], -v[98:99]
	v_fmac_f64_e32 v[34:35], v[224:225], v[68:69]
	v_add_f64 v[38:39], v[44:45], v[38:39]
	v_fma_f64 v[68:69], s[2:3], v[40:41], v[42:43]
	v_add_f64 v[44:45], v[92:93], -v[46:47]
	v_add_f64 v[50:51], v[86:87], -v[90:91]
	;; [unrolled: 1-line block ×3, first 2 shown]
	v_fmac_f64_e32 v[42:43], s[12:13], v[40:41]
	v_fmac_f64_e32 v[68:69], s[0:1], v[44:45]
	v_add_f64 v[50:51], v[50:51], v[54:55]
	v_fmac_f64_e32 v[42:43], s[14:15], v[44:45]
	v_fmac_f64_e32 v[68:69], s[6:7], v[50:51]
	;; [unrolled: 1-line block ×3, first 2 shown]
	v_add_f64 v[50:51], v[86:87], v[96:97]
	v_mul_f64 v[36:37], v[222:223], v[74:75]
	v_fmac_f64_e32 v[14:15], s[6:7], v[38:39]
	v_fmac_f64_e32 v[58:59], s[6:7], v[38:39]
	v_add_f64 v[38:39], v[60:61], v[86:87]
	v_fmac_f64_e32 v[60:61], -0.5, v[50:51]
	v_fmac_f64_e32 v[36:37], v[220:221], v[72:73]
	v_fma_f64 v[72:73], s[12:13], v[44:45], v[60:61]
	v_add_f64 v[50:51], v[90:91], -v[86:87]
	v_add_f64 v[54:55], v[94:95], -v[96:97]
	v_fmac_f64_e32 v[60:61], s[2:3], v[44:45]
	v_fmac_f64_e32 v[72:73], s[0:1], v[40:41]
	v_add_f64 v[50:51], v[50:51], v[54:55]
	v_fmac_f64_e32 v[60:61], s[14:15], v[40:41]
	v_add_f64 v[44:45], v[92:93], v[46:47]
	v_fmac_f64_e32 v[72:73], s[6:7], v[50:51]
	v_fmac_f64_e32 v[60:61], s[6:7], v[50:51]
	v_fma_f64 v[44:45], -0.5, v[44:45], v[62:63]
	v_add_f64 v[50:51], v[86:87], -v[96:97]
	v_fma_f64 v[70:71], s[12:13], v[50:51], v[44:45]
	v_add_f64 v[54:55], v[90:91], -v[94:95]
	v_add_f64 v[74:75], v[88:89], -v[92:93]
	;; [unrolled: 1-line block ×3, first 2 shown]
	v_fmac_f64_e32 v[44:45], s[2:3], v[50:51]
	v_fmac_f64_e32 v[70:71], s[14:15], v[54:55]
	v_add_f64 v[74:75], v[74:75], v[76:77]
	v_fmac_f64_e32 v[44:45], s[0:1], v[54:55]
	v_add_f64 v[40:41], v[62:63], v[88:89]
	v_fmac_f64_e32 v[70:71], s[6:7], v[74:75]
	v_fmac_f64_e32 v[44:45], s[6:7], v[74:75]
	v_add_f64 v[74:75], v[88:89], v[98:99]
	v_add_f64 v[40:41], v[40:41], v[92:93]
	v_fmac_f64_e32 v[62:63], -0.5, v[74:75]
	v_add_f64 v[40:41], v[40:41], v[46:47]
	v_fma_f64 v[74:75], s[2:3], v[54:55], v[62:63]
	v_add_f64 v[76:77], v[92:93], -v[88:89]
	v_add_f64 v[46:47], v[46:47], -v[98:99]
	v_fmac_f64_e32 v[62:63], s[12:13], v[54:55]
	v_fmac_f64_e32 v[74:75], s[14:15], v[50:51]
	v_add_f64 v[46:47], v[76:77], v[46:47]
	v_fmac_f64_e32 v[62:63], s[0:1], v[50:51]
	v_fmac_f64_e32 v[74:75], s[6:7], v[46:47]
	;; [unrolled: 1-line block ×3, first 2 shown]
	v_add_f64 v[46:47], v[64:65], v[30:31]
	v_add_f64 v[46:47], v[46:47], v[32:33]
	;; [unrolled: 1-line block ×5, first 2 shown]
	v_fma_f64 v[80:81], -0.5, v[46:47], v[64:65]
	v_add_f64 v[46:47], v[16:17], -v[28:29]
	v_fma_f64 v[84:85], s[2:3], v[46:47], v[80:81]
	v_add_f64 v[50:51], v[18:19], -v[26:27]
	v_add_f64 v[54:55], v[30:31], -v[32:33]
	;; [unrolled: 1-line block ×3, first 2 shown]
	v_fmac_f64_e32 v[80:81], s[12:13], v[46:47]
	v_fmac_f64_e32 v[84:85], s[0:1], v[50:51]
	v_add_f64 v[54:55], v[54:55], v[78:79]
	v_fmac_f64_e32 v[80:81], s[14:15], v[50:51]
	v_fmac_f64_e32 v[84:85], s[6:7], v[54:55]
	;; [unrolled: 1-line block ×3, first 2 shown]
	v_add_f64 v[54:55], v[30:31], v[36:37]
	v_fmac_f64_e32 v[64:65], -0.5, v[54:55]
	v_fma_f64 v[88:89], s[12:13], v[50:51], v[64:65]
	v_fmac_f64_e32 v[64:65], s[2:3], v[50:51]
	v_fmac_f64_e32 v[88:89], s[0:1], v[46:47]
	;; [unrolled: 1-line block ×3, first 2 shown]
	v_add_f64 v[46:47], v[66:67], v[16:17]
	v_add_f64 v[46:47], v[46:47], v[18:19]
	v_add_f64 v[54:55], v[32:33], -v[30:31]
	v_add_f64 v[78:79], v[34:35], -v[36:37]
	v_add_f64 v[46:47], v[46:47], v[26:27]
	v_add_f64 v[54:55], v[54:55], v[78:79]
	;; [unrolled: 1-line block ×4, first 2 shown]
	v_fma_f64 v[82:83], -0.5, v[46:47], v[66:67]
	v_add_f64 v[30:31], v[30:31], -v[36:37]
	v_fma_f64 v[86:87], s[12:13], v[30:31], v[82:83]
	v_add_f64 v[32:33], v[32:33], -v[34:35]
	v_add_f64 v[34:35], v[16:17], -v[18:19]
	;; [unrolled: 1-line block ×3, first 2 shown]
	v_fmac_f64_e32 v[82:83], s[2:3], v[30:31]
	v_fmac_f64_e32 v[86:87], s[14:15], v[32:33]
	v_add_f64 v[34:35], v[34:35], v[36:37]
	v_fmac_f64_e32 v[82:83], s[0:1], v[32:33]
	v_fmac_f64_e32 v[86:87], s[6:7], v[34:35]
	v_fmac_f64_e32 v[82:83], s[6:7], v[34:35]
	v_add_f64 v[34:35], v[16:17], v[28:29]
	v_fmac_f64_e32 v[66:67], -0.5, v[34:35]
	v_add_f64 v[38:39], v[38:39], v[90:91]
	v_fma_f64 v[90:91], s[2:3], v[32:33], v[66:67]
	v_add_f64 v[16:17], v[18:19], -v[16:17]
	v_add_f64 v[18:19], v[26:27], -v[28:29]
	v_fmac_f64_e32 v[66:67], s[12:13], v[32:33]
	v_add_f64 v[38:39], v[38:39], v[94:95]
	v_fmac_f64_e32 v[90:91], s[14:15], v[30:31]
	v_add_f64 v[16:17], v[16:17], v[18:19]
	v_fmac_f64_e32 v[66:67], s[0:1], v[30:31]
	ds_write_b128 v53, v[4:7]
	ds_write_b128 v53, v[8:11] offset:3264
	ds_write_b128 v53, v[12:15] offset:6528
	v_accvgpr_read_b32 v4, a104
	v_add_f64 v[38:39], v[38:39], v[96:97]
	v_add_f64 v[40:41], v[40:41], v[98:99]
	v_fmac_f64_e32 v[88:89], s[6:7], v[54:55]
	v_fmac_f64_e32 v[64:65], s[6:7], v[54:55]
	;; [unrolled: 1-line block ×4, first 2 shown]
	ds_write_b128 v4, v[56:59] offset:9792
	ds_write_b128 v4, v[0:3] offset:13056
	;; [unrolled: 1-line block ×12, first 2 shown]
	s_waitcnt lgkmcnt(0)
	s_barrier
	ds_read_b128 v[0:3], v53
	v_mov_b32_e32 v24, v23
	v_accvgpr_read_b32 v10, a58
	v_mad_u64_u32 v[4:5], s[0:1], s11, v52, v[24:25]
	v_accvgpr_read_b32 v12, a60
	v_accvgpr_read_b32 v13, a61
	v_mov_b32_e32 v23, v4
	ds_read_b128 v[4:7], v53 offset:1088
	v_accvgpr_read_b32 v11, a59
	s_waitcnt lgkmcnt(1)
	v_mul_f64 v[8:9], v[12:13], v[2:3]
	v_fmac_f64_e32 v[8:9], v[10:11], v[0:1]
	v_mul_f64 v[0:1], v[12:13], v[0:1]
	s_mov_b32 s0, 0x10101010
	v_fma_f64 v[0:1], v[10:11], v[2:3], -v[0:1]
	v_accvgpr_read_b32 v2, a30
	s_mov_b32 s1, 0x3f501010
	v_mad_u64_u32 v[12:13], s[2:3], s8, v2, 0
	v_mul_f64 v[10:11], v[0:1], s[0:1]
	v_mov_b32_e32 v0, v13
	v_mad_u64_u32 v[0:1], s[2:3], s9, v2, v[0:1]
	v_mov_b32_e32 v13, v0
	ds_read_b128 v[0:3], v53 offset:8160
	v_lshl_add_u64 v[14:15], v[22:23], 4, v[20:21]
	v_accvgpr_read_b32 v21, a5
	v_mul_f64 v[8:9], v[8:9], s[0:1]
	v_lshl_add_u64 v[16:17], v[12:13], 4, v[14:15]
	v_accvgpr_read_b32 v20, a4
	global_store_dwordx4 v[16:17], v[8:11], off
	ds_read_b128 v[8:11], v53 offset:6528
	v_accvgpr_read_b32 v19, a3
	v_accvgpr_read_b32 v18, a2
	s_waitcnt lgkmcnt(1)
	v_mul_f64 v[12:13], v[20:21], v[2:3]
	s_mul_i32 s2, s9, 0x1fe
	s_mul_hi_u32 s3, s8, 0x1fe
	v_fmac_f64_e32 v[12:13], v[18:19], v[0:1]
	v_mul_f64 v[0:1], v[20:21], v[0:1]
	s_add_i32 s3, s3, s2
	s_mul_i32 s2, s8, 0x1fe
	v_fma_f64 v[0:1], v[18:19], v[2:3], -v[0:1]
	s_lshl_b64 s[10:11], s[2:3], 4
	v_mul_f64 v[12:13], v[12:13], s[0:1]
	v_mul_f64 v[14:15], v[0:1], s[0:1]
	v_lshl_add_u64 v[16:17], v[16:17], 0, s[10:11]
	global_store_dwordx4 v[16:17], v[12:15], off
	s_mul_hi_u32 s7, s8, 0xfffffe46
	s_mul_i32 s6, s9, 0xfffffe46
	v_accvgpr_read_b32 v15, a9
	v_accvgpr_read_b32 v14, a8
	;; [unrolled: 1-line block ×4, first 2 shown]
	v_mul_f64 v[0:1], v[14:15], v[6:7]
	v_mul_f64 v[2:3], v[14:15], v[4:5]
	v_fmac_f64_e32 v[0:1], v[12:13], v[4:5]
	v_fma_f64 v[2:3], v[12:13], v[6:7], -v[2:3]
	ds_read_b128 v[4:7], v53 offset:9248
	s_sub_i32 s7, s7, s8
	s_add_i32 s7, s7, s6
	s_mul_i32 s6, s8, 0xfffffe46
	s_lshl_b64 s[8:9], s[6:7], 4
	v_accvgpr_read_b32 v21, a13
	v_mul_f64 v[0:1], v[0:1], s[0:1]
	v_mul_f64 v[2:3], v[2:3], s[0:1]
	v_lshl_add_u64 v[16:17], v[16:17], 0, s[8:9]
	v_accvgpr_read_b32 v20, a12
	global_store_dwordx4 v[16:17], v[0:3], off
	ds_read_b128 v[0:3], v53 offset:10336
	v_accvgpr_read_b32 v19, a11
	v_accvgpr_read_b32 v18, a10
	s_waitcnt lgkmcnt(1)
	v_mul_f64 v[12:13], v[20:21], v[6:7]
	v_fmac_f64_e32 v[12:13], v[18:19], v[4:5]
	v_mul_f64 v[4:5], v[20:21], v[4:5]
	v_fma_f64 v[14:15], v[18:19], v[6:7], -v[4:5]
	ds_read_b128 v[4:7], v53 offset:2176
	v_accvgpr_read_b32 v25, a17
	v_mul_f64 v[12:13], v[12:13], s[0:1]
	v_mul_f64 v[14:15], v[14:15], s[0:1]
	v_lshl_add_u64 v[20:21], v[16:17], 0, s[10:11]
	v_accvgpr_read_b32 v24, a16
	global_store_dwordx4 v[20:21], v[12:15], off
	ds_read_b128 v[12:15], v53 offset:3264
	v_accvgpr_read_b32 v23, a15
	v_accvgpr_read_b32 v22, a14
	s_waitcnt lgkmcnt(1)
	v_mul_f64 v[16:17], v[24:25], v[6:7]
	v_fmac_f64_e32 v[16:17], v[22:23], v[4:5]
	v_mul_f64 v[4:5], v[24:25], v[4:5]
	v_fma_f64 v[4:5], v[22:23], v[6:7], -v[4:5]
	v_mul_f64 v[16:17], v[16:17], s[0:1]
	v_mul_f64 v[18:19], v[4:5], s[0:1]
	v_lshl_add_u64 v[20:21], v[20:21], 0, s[8:9]
	global_store_dwordx4 v[20:21], v[16:19], off
	v_accvgpr_read_b32 v22, a32
	v_accvgpr_read_b32 v24, a34
	v_accvgpr_read_b32 v16, a18
	v_accvgpr_read_b32 v18, a20
	v_accvgpr_read_b32 v19, a21
	v_accvgpr_read_b32 v17, a19
	v_mul_f64 v[4:5], v[18:19], v[2:3]
	v_fmac_f64_e32 v[4:5], v[16:17], v[0:1]
	v_mul_f64 v[0:1], v[18:19], v[0:1]
	v_fma_f64 v[0:1], v[16:17], v[2:3], -v[0:1]
	v_mul_f64 v[4:5], v[4:5], s[0:1]
	v_mul_f64 v[6:7], v[0:1], s[0:1]
	v_lshl_add_u64 v[16:17], v[20:21], 0, s[10:11]
	global_store_dwordx4 v[16:17], v[4:7], off
	v_accvgpr_read_b32 v18, a26
	v_lshl_add_u64 v[16:17], v[16:17], 0, s[8:9]
	v_accvgpr_read_b32 v4, a22
	v_accvgpr_read_b32 v6, a24
	;; [unrolled: 1-line block ×4, first 2 shown]
	s_waitcnt lgkmcnt(0)
	v_mul_f64 v[0:1], v[6:7], v[14:15]
	v_mul_f64 v[2:3], v[6:7], v[12:13]
	v_fmac_f64_e32 v[0:1], v[4:5], v[12:13]
	v_fma_f64 v[2:3], v[4:5], v[14:15], -v[2:3]
	ds_read_b128 v[4:7], v53 offset:11424
	v_mul_f64 v[0:1], v[0:1], s[0:1]
	v_mul_f64 v[2:3], v[2:3], s[0:1]
	v_accvgpr_read_b32 v20, a28
	v_accvgpr_read_b32 v21, a29
	global_store_dwordx4 v[16:17], v[0:3], off
	ds_read_b128 v[0:3], v53 offset:12512
	v_accvgpr_read_b32 v19, a27
	s_waitcnt lgkmcnt(1)
	v_mul_f64 v[12:13], v[20:21], v[6:7]
	v_fmac_f64_e32 v[12:13], v[18:19], v[4:5]
	v_mul_f64 v[4:5], v[20:21], v[4:5]
	v_fma_f64 v[14:15], v[18:19], v[6:7], -v[4:5]
	ds_read_b128 v[4:7], v53 offset:4352
	v_mul_f64 v[12:13], v[12:13], s[0:1]
	v_mul_f64 v[14:15], v[14:15], s[0:1]
	v_lshl_add_u64 v[20:21], v[16:17], 0, s[10:11]
	v_accvgpr_read_b32 v25, a35
	global_store_dwordx4 v[20:21], v[12:15], off
	ds_read_b128 v[12:15], v53 offset:5440
	v_accvgpr_read_b32 v23, a33
	s_waitcnt lgkmcnt(1)
	v_mul_f64 v[16:17], v[24:25], v[6:7]
	v_fmac_f64_e32 v[16:17], v[22:23], v[4:5]
	v_mul_f64 v[4:5], v[24:25], v[4:5]
	v_fma_f64 v[4:5], v[22:23], v[6:7], -v[4:5]
	v_mul_f64 v[16:17], v[16:17], s[0:1]
	v_mul_f64 v[18:19], v[4:5], s[0:1]
	v_lshl_add_u64 v[20:21], v[20:21], 0, s[8:9]
	global_store_dwordx4 v[20:21], v[16:19], off
	s_nop 1
	v_accvgpr_read_b32 v16, a36
	v_accvgpr_read_b32 v18, a38
	;; [unrolled: 1-line block ×4, first 2 shown]
	v_mul_f64 v[4:5], v[18:19], v[2:3]
	v_fmac_f64_e32 v[4:5], v[16:17], v[0:1]
	v_mul_f64 v[0:1], v[18:19], v[0:1]
	v_fma_f64 v[0:1], v[16:17], v[2:3], -v[0:1]
	v_mul_f64 v[4:5], v[4:5], s[0:1]
	v_mul_f64 v[6:7], v[0:1], s[0:1]
	v_lshl_add_u64 v[16:17], v[20:21], 0, s[10:11]
	global_store_dwordx4 v[16:17], v[4:7], off
	v_accvgpr_read_b32 v18, a40
	v_lshl_add_u64 v[16:17], v[16:17], 0, s[8:9]
	v_accvgpr_read_b32 v4, a44
	v_accvgpr_read_b32 v6, a46
	;; [unrolled: 1-line block ×4, first 2 shown]
	s_waitcnt lgkmcnt(0)
	v_mul_f64 v[0:1], v[6:7], v[14:15]
	v_mul_f64 v[2:3], v[6:7], v[12:13]
	v_fmac_f64_e32 v[0:1], v[4:5], v[12:13]
	v_fma_f64 v[2:3], v[4:5], v[14:15], -v[2:3]
	ds_read_b128 v[4:7], v53 offset:13600
	v_mul_f64 v[0:1], v[0:1], s[0:1]
	v_mul_f64 v[2:3], v[2:3], s[0:1]
	v_accvgpr_read_b32 v20, a42
	v_accvgpr_read_b32 v21, a43
	global_store_dwordx4 v[16:17], v[0:3], off
	ds_read_b128 v[0:3], v53 offset:14688
	v_accvgpr_read_b32 v19, a41
	s_waitcnt lgkmcnt(1)
	v_mul_f64 v[12:13], v[20:21], v[6:7]
	v_fmac_f64_e32 v[12:13], v[18:19], v[4:5]
	v_mul_f64 v[4:5], v[20:21], v[4:5]
	v_fma_f64 v[4:5], v[18:19], v[6:7], -v[4:5]
	v_mul_f64 v[12:13], v[12:13], s[0:1]
	v_mul_f64 v[14:15], v[4:5], s[0:1]
	v_lshl_add_u64 v[16:17], v[16:17], 0, s[10:11]
	global_store_dwordx4 v[16:17], v[12:15], off
	s_nop 1
	v_accvgpr_read_b32 v12, a48
	v_accvgpr_read_b32 v14, a50
	;; [unrolled: 1-line block ×4, first 2 shown]
	v_mul_f64 v[4:5], v[14:15], v[10:11]
	v_mul_f64 v[6:7], v[14:15], v[8:9]
	v_fmac_f64_e32 v[4:5], v[12:13], v[8:9]
	v_fma_f64 v[6:7], v[12:13], v[10:11], -v[6:7]
	v_accvgpr_read_b32 v10, a52
	v_mul_f64 v[4:5], v[4:5], s[0:1]
	v_mul_f64 v[6:7], v[6:7], s[0:1]
	v_lshl_add_u64 v[8:9], v[16:17], 0, s[8:9]
	v_accvgpr_read_b32 v12, a54
	v_accvgpr_read_b32 v13, a55
	global_store_dwordx4 v[8:9], v[4:7], off
	v_accvgpr_read_b32 v11, a53
	s_waitcnt lgkmcnt(0)
	v_mul_f64 v[4:5], v[12:13], v[2:3]
	v_fmac_f64_e32 v[4:5], v[10:11], v[0:1]
	v_mul_f64 v[0:1], v[12:13], v[0:1]
	v_fma_f64 v[0:1], v[10:11], v[2:3], -v[0:1]
	v_mul_f64 v[4:5], v[4:5], s[0:1]
	v_mul_f64 v[6:7], v[0:1], s[0:1]
	v_lshl_add_u64 v[0:1], v[8:9], 0, s[10:11]
	global_store_dwordx4 v[0:1], v[4:7], off
	s_and_b64 exec, exec, s[4:5]
	s_cbranch_execz .LBB0_31
; %bb.30:
	v_accvgpr_read_b32 v17, a1
	v_accvgpr_read_b32 v16, a0
	v_add_co_u32_e32 v2, vcc, 0x1000, v16
	v_lshl_add_u64 v[14:15], s[6:7], 4, v[0:1]
	s_nop 0
	v_addc_co_u32_e32 v3, vcc, 0, v17, vcc
	global_load_dwordx4 v[2:5], v[2:3], off offset:3520
	ds_read_b128 v[6:9], v53 offset:7616
	ds_read_b128 v[10:13], v53 offset:15776
	s_movk_i32 s4, 0x3000
	v_add_co_u32_e32 v16, vcc, s4, v16
	s_waitcnt vmcnt(0) lgkmcnt(1)
	v_mul_f64 v[0:1], v[8:9], v[4:5]
	v_mul_f64 v[4:5], v[6:7], v[4:5]
	v_fmac_f64_e32 v[0:1], v[6:7], v[2:3]
	v_fma_f64 v[2:3], v[2:3], v[8:9], -v[4:5]
	v_mul_f64 v[0:1], v[0:1], s[0:1]
	v_mul_f64 v[2:3], v[2:3], s[0:1]
	v_addc_co_u32_e32 v17, vcc, 0, v17, vcc
	global_store_dwordx4 v[14:15], v[0:3], off
	global_load_dwordx4 v[0:3], v[16:17], off offset:3488
	s_waitcnt vmcnt(0) lgkmcnt(0)
	v_mul_f64 v[4:5], v[12:13], v[2:3]
	v_mul_f64 v[2:3], v[10:11], v[2:3]
	v_fmac_f64_e32 v[4:5], v[10:11], v[0:1]
	v_fma_f64 v[2:3], v[0:1], v[12:13], -v[2:3]
	v_mul_f64 v[0:1], v[4:5], s[0:1]
	v_mul_f64 v[2:3], v[2:3], s[0:1]
	v_lshl_add_u64 v[4:5], s[2:3], 4, v[14:15]
	global_store_dwordx4 v[4:5], v[0:3], off
.LBB0_31:
	s_endpgm
	.section	.rodata,"a",@progbits
	.p2align	6, 0x0
	.amdhsa_kernel bluestein_single_fwd_len1020_dim1_dp_op_CI_CI
		.amdhsa_group_segment_fixed_size 48960
		.amdhsa_private_segment_fixed_size 0
		.amdhsa_kernarg_size 104
		.amdhsa_user_sgpr_count 2
		.amdhsa_user_sgpr_dispatch_ptr 0
		.amdhsa_user_sgpr_queue_ptr 0
		.amdhsa_user_sgpr_kernarg_segment_ptr 1
		.amdhsa_user_sgpr_dispatch_id 0
		.amdhsa_user_sgpr_kernarg_preload_length 0
		.amdhsa_user_sgpr_kernarg_preload_offset 0
		.amdhsa_user_sgpr_private_segment_size 0
		.amdhsa_uses_dynamic_stack 0
		.amdhsa_enable_private_segment 0
		.amdhsa_system_sgpr_workgroup_id_x 1
		.amdhsa_system_sgpr_workgroup_id_y 0
		.amdhsa_system_sgpr_workgroup_id_z 0
		.amdhsa_system_sgpr_workgroup_info 0
		.amdhsa_system_vgpr_workitem_id 0
		.amdhsa_next_free_vgpr 470
		.amdhsa_next_free_sgpr 66
		.amdhsa_accum_offset 256
		.amdhsa_reserve_vcc 1
		.amdhsa_float_round_mode_32 0
		.amdhsa_float_round_mode_16_64 0
		.amdhsa_float_denorm_mode_32 3
		.amdhsa_float_denorm_mode_16_64 3
		.amdhsa_dx10_clamp 1
		.amdhsa_ieee_mode 1
		.amdhsa_fp16_overflow 0
		.amdhsa_tg_split 0
		.amdhsa_exception_fp_ieee_invalid_op 0
		.amdhsa_exception_fp_denorm_src 0
		.amdhsa_exception_fp_ieee_div_zero 0
		.amdhsa_exception_fp_ieee_overflow 0
		.amdhsa_exception_fp_ieee_underflow 0
		.amdhsa_exception_fp_ieee_inexact 0
		.amdhsa_exception_int_div_zero 0
	.end_amdhsa_kernel
	.text
.Lfunc_end0:
	.size	bluestein_single_fwd_len1020_dim1_dp_op_CI_CI, .Lfunc_end0-bluestein_single_fwd_len1020_dim1_dp_op_CI_CI
                                        ; -- End function
	.section	.AMDGPU.csdata,"",@progbits
; Kernel info:
; codeLenInByte = 32548
; NumSgprs: 72
; NumVgprs: 256
; NumAgprs: 214
; TotalNumVgprs: 470
; ScratchSize: 0
; MemoryBound: 0
; FloatMode: 240
; IeeeMode: 1
; LDSByteSize: 48960 bytes/workgroup (compile time only)
; SGPRBlocks: 8
; VGPRBlocks: 58
; NumSGPRsForWavesPerEU: 72
; NumVGPRsForWavesPerEU: 470
; AccumOffset: 256
; Occupancy: 1
; WaveLimiterHint : 1
; COMPUTE_PGM_RSRC2:SCRATCH_EN: 0
; COMPUTE_PGM_RSRC2:USER_SGPR: 2
; COMPUTE_PGM_RSRC2:TRAP_HANDLER: 0
; COMPUTE_PGM_RSRC2:TGID_X_EN: 1
; COMPUTE_PGM_RSRC2:TGID_Y_EN: 0
; COMPUTE_PGM_RSRC2:TGID_Z_EN: 0
; COMPUTE_PGM_RSRC2:TIDIG_COMP_CNT: 0
; COMPUTE_PGM_RSRC3_GFX90A:ACCUM_OFFSET: 63
; COMPUTE_PGM_RSRC3_GFX90A:TG_SPLIT: 0
	.text
	.p2alignl 6, 3212836864
	.fill 256, 4, 3212836864
	.type	__hip_cuid_4af1dedb5ceccf9d,@object ; @__hip_cuid_4af1dedb5ceccf9d
	.section	.bss,"aw",@nobits
	.globl	__hip_cuid_4af1dedb5ceccf9d
__hip_cuid_4af1dedb5ceccf9d:
	.byte	0                               ; 0x0
	.size	__hip_cuid_4af1dedb5ceccf9d, 1

	.ident	"AMD clang version 19.0.0git (https://github.com/RadeonOpenCompute/llvm-project roc-6.4.0 25133 c7fe45cf4b819c5991fe208aaa96edf142730f1d)"
	.section	".note.GNU-stack","",@progbits
	.addrsig
	.addrsig_sym __hip_cuid_4af1dedb5ceccf9d
	.amdgpu_metadata
---
amdhsa.kernels:
  - .agpr_count:     214
    .args:
      - .actual_access:  read_only
        .address_space:  global
        .offset:         0
        .size:           8
        .value_kind:     global_buffer
      - .actual_access:  read_only
        .address_space:  global
        .offset:         8
        .size:           8
        .value_kind:     global_buffer
      - .actual_access:  read_only
        .address_space:  global
        .offset:         16
        .size:           8
        .value_kind:     global_buffer
      - .actual_access:  read_only
        .address_space:  global
        .offset:         24
        .size:           8
        .value_kind:     global_buffer
      - .actual_access:  read_only
        .address_space:  global
        .offset:         32
        .size:           8
        .value_kind:     global_buffer
      - .offset:         40
        .size:           8
        .value_kind:     by_value
      - .address_space:  global
        .offset:         48
        .size:           8
        .value_kind:     global_buffer
      - .address_space:  global
        .offset:         56
        .size:           8
        .value_kind:     global_buffer
      - .address_space:  global
        .offset:         64
        .size:           8
        .value_kind:     global_buffer
      - .address_space:  global
        .offset:         72
        .size:           8
        .value_kind:     global_buffer
      - .offset:         80
        .size:           4
        .value_kind:     by_value
      - .address_space:  global
        .offset:         88
        .size:           8
        .value_kind:     global_buffer
      - .address_space:  global
        .offset:         96
        .size:           8
        .value_kind:     global_buffer
    .group_segment_fixed_size: 48960
    .kernarg_segment_align: 8
    .kernarg_segment_size: 104
    .language:       OpenCL C
    .language_version:
      - 2
      - 0
    .max_flat_workgroup_size: 204
    .name:           bluestein_single_fwd_len1020_dim1_dp_op_CI_CI
    .private_segment_fixed_size: 0
    .sgpr_count:     72
    .sgpr_spill_count: 0
    .symbol:         bluestein_single_fwd_len1020_dim1_dp_op_CI_CI.kd
    .uniform_work_group_size: 1
    .uses_dynamic_stack: false
    .vgpr_count:     470
    .vgpr_spill_count: 0
    .wavefront_size: 64
amdhsa.target:   amdgcn-amd-amdhsa--gfx950
amdhsa.version:
  - 1
  - 2
...

	.end_amdgpu_metadata
